;; amdgpu-corpus repo=ROCm/aiter kind=harvested arch=n/a opt=n/a

/root/src/amdgpu-assembly/repos/ROCm__aiter/hsa/gfx942/fmoe_2stages/fmoe_stage1_bf16_pertokenInt8_g1u1_96x128_pf3.co:	file format elf64-amdgpu

Disassembly of section .text:

0000000000002a00 <_ZN5aiter45fmoe_stage1_bf16_pertokenInt8_g1u1_96x128_pf3E>:
	s_and_b32 s1, s1, 0xffff                                   // 000000002A00: 8601FF01 0000FFFF
	s_load_dwordx2 s[8:9], s[0:1], 0x0                         // 000000002A08: C0060200 00000000
	s_load_dwordx2 s[20:21], s[0:1], 0x10                      // 000000002A10: C0060500 00000010
	s_load_dwordx2 s[24:25], s[0:1], 0x20                      // 000000002A18: C0060600 00000020
	s_load_dwordx2 s[48:49], s[0:1], 0x30                      // 000000002A20: C0060C00 00000030
	s_load_dwordx2 s[28:29], s[0:1], 0x40                      // 000000002A28: C0060700 00000040
	s_load_dwordx2 s[32:33], s[0:1], 0x50                      // 000000002A30: C0060800 00000050
	s_load_dwordx2 s[36:37], s[0:1], 0x60                      // 000000002A38: C0060900 00000060
	s_load_dwordx2 s[12:13], s[0:1], 0x70                      // 000000002A40: C0060300 00000070
	s_load_dwordx2 s[44:45], s[0:1], 0x80                      // 000000002A48: C0060B00 00000080
	s_mov_b32 s89, 0                                           // 000000002A50: BED90080
	s_load_dword s64, s[0:1], 0x90                             // 000000002A54: C0021000 00000090
	s_load_dword s65, s[0:1], 0xa0                             // 000000002A5C: C0021040 000000A0
	s_load_dword s66, s[0:1], 0xb0                             // 000000002A64: C0021080 000000B0
	s_load_dword s67, s[0:1], 0xc0                             // 000000002A6C: C00210C0 000000C0
	s_load_dword s68, s[0:1], 0xd0                             // 000000002A74: C0021100 000000D0
	s_load_dword s69, s[0:1], 0xe0                             // 000000002A7C: C0021140 000000E0
	s_load_dword s71, s[0:1], 0xf0                             // 000000002A84: C00211C0 000000F0
	s_load_dword s72, s[0:1], 0x100                            // 000000002A8C: C0021200 00000100
	s_load_dword s74, s[0:1], 0x110                            // 000000002A94: C0021280 00000110
	s_load_dword s76, s[0:1], 0x120                            // 000000002A9C: C0021300 00000120
	s_load_dword s56, s[0:1], 0x130                            // 000000002AA4: C0020E00 00000130
	s_load_dword s88, s[0:1], 0x140                            // 000000002AAC: C0021600 00000140
	s_load_dword s89, s[0:1], 0x150                            // 000000002AB4: C0021640 00000150
	v_lshrrev_b32_e32 v1, 10, v0                               // 000000002ABC: 2002008A
	v_lshrrev_b32_e32 v2, 10, v1                               // 000000002AC0: 2004028A
	v_and_b32_e32 v2, 0x3ff, v2                                // 000000002AC4: 260404FF 000003FF
	v_and_b32_e32 v1, 0x3ff, v1                                // 000000002ACC: 260202FF 000003FF
	v_and_b32_e32 v0, 0x3ff, v0                                // 000000002AD4: 260000FF 000003FF
	v_lshrrev_b32_e32 v3, 6, v0                                // 000000002ADC: 20060086
	v_and_b32_e32 v0, 63, v0                                   // 000000002AE0: 260000BF
	s_mov_b32 s2, s2                                           // 000000002AE4: BE820002
	s_mov_b32 s3, s3                                           // 000000002AE8: BE830003
	s_mov_b32 s4, s4                                           // 000000002AEC: BE840004
	v_readfirstlane_b32 s7, v3                                 // 000000002AF0: 7E0E0503
	s_waitcnt lgkmcnt(0)                                       // 000000002AF4: BF8CC07F
	s_and_b32 s49, s49, 0xffff                                 // 000000002AF8: 8631FF31 0000FFFF
	s_load_dword s48, s[48:49], 0x0                            // 000000002B00: C0020C18 00000000
	s_and_b32 s45, s45, 0xffff                                 // 000000002B08: 862DFF2D 0000FFFF
	s_and_b32 s9, s9, 0xffff                                   // 000000002B10: 8609FF09 0000FFFF
	s_mul_i32 s60, s66, s68                                    // 000000002B18: 923C4442
	s_mul_i32 s61, s66, 4                                      // 000000002B1C: 923D8442
	s_mov_b32 s22, s60                                         // 000000002B20: BE96003C
	s_mov_b32 s26, -16                                         // 000000002B24: BE9A00D0
	s_mov_b32 s30, s61                                         // 000000002B28: BE9E003D
	s_mov_b32 s14, 0x180                                       // 000000002B2C: BE8E00FF 00000180
	s_mov_b32 s38, -16                                         // 000000002B34: BEA600D0
	s_mov_b32 s10, -16                                         // 000000002B38: BE8A00D0
	s_mov_b32 s34, 0x200                                       // 000000002B3C: BEA200FF 00000200
	s_mov_b32 s23, 0x20000                                     // 000000002B44: BE9700FF 00020000
	s_mov_b32 s27, 0x20000                                     // 000000002B4C: BE9B00FF 00020000
	s_mov_b32 s31, 0x20000                                     // 000000002B54: BE9F00FF 00020000
	s_mov_b32 s35, 0x20000                                     // 000000002B5C: BEA300FF 00020000
	s_mov_b32 s15, 0x20000                                     // 000000002B64: BE8F00FF 00020000
	s_mov_b32 s39, 0x20000                                     // 000000002B6C: BEA700FF 00020000
	s_mov_b32 s11, 0x20000                                     // 000000002B74: BE8B00FF 00020000
	s_and_b32 s21, s21, 0xffff                                 // 000000002B7C: 8615FF15 0000FFFF
	s_and_b32 s25, s25, 0xffff                                 // 000000002B84: 8619FF19 0000FFFF
	s_and_b32 s29, s29, 0xffff                                 // 000000002B8C: 861DFF1D 0000FFFF
	s_and_b32 s33, s33, 0xffff                                 // 000000002B94: 8621FF21 0000FFFF
	s_and_b32 s13, s13, 0xffff                                 // 000000002B9C: 860DFF0D 0000FFFF
	s_and_b32 s37, s37, 0xffff                                 // 000000002BA4: 8625FF25 0000FFFF
	s_or_b32 s21, s21, 0x40000                                 // 000000002BAC: 8715FF15 00040000
	s_or_b32 s25, s25, 0x40000                                 // 000000002BB4: 8719FF19 00040000
	s_or_b32 s29, s29, 0x40000                                 // 000000002BBC: 871DFF1D 00040000
	s_or_b32 s33, s33, 0x40000                                 // 000000002BC4: 8721FF21 00040000
	s_or_b32 s13, s13, 0x40000                                 // 000000002BCC: 870DFF0D 00040000
	s_or_b32 s37, s37, 0x40000                                 // 000000002BD4: 8725FF25 00040000
	v_accvgpr_write_b32 a143, 0                                // 000000002BDC: D3D9408F 18000080
	v_mov_b32_e32 v163, 0                                      // 000000002BE4: 7F460280
	s_waitcnt lgkmcnt(0)                                       // 000000002BE8: BF8CC07F
	s_mul_i32 s60, s3, 0x60                                    // 000000002BEC: 923CFF03 00000060
	s_cmp_lt_i32 s60, s48                                      // 000000002BF4: BF04303C
	s_cbranch_scc0 label_2E9E                                  // 000000002BF8: BF842E1C
	s_mov_b32 s80, 0                                           // 000000002BFC: BED00080
	s_lshr_b32 s81, s64, s88                                   // 000000002C00: 8F515840
	s_mul_i32 s60, s3, 4                                       // 000000002C04: 923C8403
	s_add_u32 s44, s60, s44                                    // 000000002C08: 802C2C3C
	s_addc_u32 s45, 0, s45                                     // 000000002C0C: 822D2D80
	s_load_dword s5, s[44:45], 0x0                             // 000000002C10: C0020156 00000000
	s_mul_i32 s60, s3, 0x60                                    // 000000002C18: 923CFF03 00000060
	s_mul_i32 s60, 4, s60                                      // 000000002C20: 923C3C84
	s_add_u32 s12, s60, s12                                    // 000000002C24: 800C0C3C
	s_addc_u32 s13, 0, s13                                     // 000000002C28: 820D0D80
	v_and_b32_e32 v4, 15, v0                                   // 000000002C2C: 2608008F
	v_lshlrev_b32_e32 v4, 2, v4                                // 000000002C30: 24080882
	buffer_load_dword v30, v4, s[12:15], 0 offen               // 000000002C34: E0501000 80031E04
	v_add_u32_e32 v4, 64, v4                                   // 000000002C3C: 680808C0
	buffer_load_dword v31, v4, s[12:15], 0 offen               // 000000002C40: E0501000 80031F04
	v_add_u32_e32 v4, 64, v4                                   // 000000002C48: 680808C0
	buffer_load_dword v32, v4, s[12:15], 0 offen               // 000000002C4C: E0501000 80032004
	v_add_u32_e32 v4, 64, v4                                   // 000000002C54: 680808C0
	buffer_load_dword v33, v4, s[12:15], 0 offen               // 000000002C58: E0501000 80032104
	v_add_u32_e32 v4, 64, v4                                   // 000000002C60: 680808C0
	buffer_load_dword v34, v4, s[12:15], 0 offen               // 000000002C64: E0501000 80032204
	v_add_u32_e32 v4, 64, v4                                   // 000000002C6C: 680808C0
	buffer_load_dword v35, v4, s[12:15], 0 offen               // 000000002C70: E0501000 80032304
	v_add_u32_e32 v4, 64, v4                                   // 000000002C78: 680808C0
	s_mul_i32 s60, 4, s7                                       // 000000002C7C: 923C0784
	v_lshlrev_b32_e32 v4, 4, v0                                // 000000002C80: 24080084
	v_add_u32_e32 v4, s60, v4                                  // 000000002C84: 6808083C
	buffer_load_dword v3, v4, s[12:15], 0 offen                // 000000002C88: E0501000 80030304
	v_mov_b32_e32 v68, 0                                       // 000000002C90: 7E880280
	v_mov_b32_e32 v116, 0                                      // 000000002C94: 7EE80280
	v_mov_b32_e32 v69, 0                                       // 000000002C98: 7E8A0280
	v_mov_b32_e32 v117, 0                                      // 000000002C9C: 7EEA0280
	v_mov_b32_e32 v70, 0                                       // 000000002CA0: 7E8C0280
	v_mov_b32_e32 v118, 0                                      // 000000002CA4: 7EEC0280
	v_mov_b32_e32 v71, 0                                       // 000000002CA8: 7E8E0280
	v_mov_b32_e32 v119, 0                                      // 000000002CAC: 7EEE0280
	v_mov_b32_e32 v72, 0                                       // 000000002CB0: 7E900280
	v_mov_b32_e32 v120, 0                                      // 000000002CB4: 7EF00280
	v_mov_b32_e32 v73, 0                                       // 000000002CB8: 7E920280
	v_mov_b32_e32 v121, 0                                      // 000000002CBC: 7EF20280
	v_mov_b32_e32 v74, 0                                       // 000000002CC0: 7E940280
	v_mov_b32_e32 v122, 0                                      // 000000002CC4: 7EF40280
	v_mov_b32_e32 v75, 0                                       // 000000002CC8: 7E960280
	v_mov_b32_e32 v123, 0                                      // 000000002CCC: 7EF60280
	v_mov_b32_e32 v76, 0                                       // 000000002CD0: 7E980280
	v_mov_b32_e32 v124, 0                                      // 000000002CD4: 7EF80280
	v_mov_b32_e32 v77, 0                                       // 000000002CD8: 7E9A0280
	v_mov_b32_e32 v125, 0                                      // 000000002CDC: 7EFA0280
	v_mov_b32_e32 v78, 0                                       // 000000002CE0: 7E9C0280
	v_mov_b32_e32 v126, 0                                      // 000000002CE4: 7EFC0280
	v_mov_b32_e32 v79, 0                                       // 000000002CE8: 7E9E0280
	v_mov_b32_e32 v127, 0                                      // 000000002CEC: 7EFE0280
	v_mov_b32_e32 v80, 0                                       // 000000002CF0: 7EA00280
	v_mov_b32_e32 v128, 0                                      // 000000002CF4: 7F000280
	v_mov_b32_e32 v81, 0                                       // 000000002CF8: 7EA20280
	v_mov_b32_e32 v129, 0                                      // 000000002CFC: 7F020280
	v_mov_b32_e32 v82, 0                                       // 000000002D00: 7EA40280
	v_mov_b32_e32 v130, 0                                      // 000000002D04: 7F040280
	v_mov_b32_e32 v83, 0                                       // 000000002D08: 7EA60280
	v_mov_b32_e32 v131, 0                                      // 000000002D0C: 7F060280
	v_mov_b32_e32 v84, 0                                       // 000000002D10: 7EA80280
	v_mov_b32_e32 v132, 0                                      // 000000002D14: 7F080280
	v_mov_b32_e32 v85, 0                                       // 000000002D18: 7EAA0280
	v_mov_b32_e32 v133, 0                                      // 000000002D1C: 7F0A0280
	v_mov_b32_e32 v86, 0                                       // 000000002D20: 7EAC0280
	v_mov_b32_e32 v134, 0                                      // 000000002D24: 7F0C0280
	v_mov_b32_e32 v87, 0                                       // 000000002D28: 7EAE0280
	v_mov_b32_e32 v135, 0                                      // 000000002D2C: 7F0E0280
	v_mov_b32_e32 v88, 0                                       // 000000002D30: 7EB00280
	v_mov_b32_e32 v136, 0                                      // 000000002D34: 7F100280
	v_mov_b32_e32 v89, 0                                       // 000000002D38: 7EB20280
	v_mov_b32_e32 v137, 0                                      // 000000002D3C: 7F120280
	v_mov_b32_e32 v90, 0                                       // 000000002D40: 7EB40280
	v_mov_b32_e32 v138, 0                                      // 000000002D44: 7F140280
	v_mov_b32_e32 v91, 0                                       // 000000002D48: 7EB60280
	v_mov_b32_e32 v139, 0                                      // 000000002D4C: 7F160280
	v_mov_b32_e32 v92, 0                                       // 000000002D50: 7EB80280
	v_mov_b32_e32 v140, 0                                      // 000000002D54: 7F180280
	v_mov_b32_e32 v93, 0                                       // 000000002D58: 7EBA0280
	v_mov_b32_e32 v141, 0                                      // 000000002D5C: 7F1A0280
	v_mov_b32_e32 v94, 0                                       // 000000002D60: 7EBC0280
	v_mov_b32_e32 v142, 0                                      // 000000002D64: 7F1C0280
	v_mov_b32_e32 v95, 0                                       // 000000002D68: 7EBE0280
	v_mov_b32_e32 v143, 0                                      // 000000002D6C: 7F1E0280
	v_mov_b32_e32 v96, 0                                       // 000000002D70: 7EC00280
	v_mov_b32_e32 v144, 0                                      // 000000002D74: 7F200280
	v_mov_b32_e32 v97, 0                                       // 000000002D78: 7EC20280
	v_mov_b32_e32 v145, 0                                      // 000000002D7C: 7F220280
	v_mov_b32_e32 v98, 0                                       // 000000002D80: 7EC40280
	v_mov_b32_e32 v146, 0                                      // 000000002D84: 7F240280
	v_mov_b32_e32 v99, 0                                       // 000000002D88: 7EC60280
	v_mov_b32_e32 v147, 0                                      // 000000002D8C: 7F260280
	v_mov_b32_e32 v100, 0                                      // 000000002D90: 7EC80280
	v_mov_b32_e32 v148, 0                                      // 000000002D94: 7F280280
	v_mov_b32_e32 v101, 0                                      // 000000002D98: 7ECA0280
	v_mov_b32_e32 v149, 0                                      // 000000002D9C: 7F2A0280
	v_mov_b32_e32 v102, 0                                      // 000000002DA0: 7ECC0280
	v_mov_b32_e32 v150, 0                                      // 000000002DA4: 7F2C0280
	v_mov_b32_e32 v103, 0                                      // 000000002DA8: 7ECE0280
	v_mov_b32_e32 v151, 0                                      // 000000002DAC: 7F2E0280
	v_mov_b32_e32 v104, 0                                      // 000000002DB0: 7ED00280
	v_mov_b32_e32 v152, 0                                      // 000000002DB4: 7F300280
	v_mov_b32_e32 v105, 0                                      // 000000002DB8: 7ED20280
	v_mov_b32_e32 v153, 0                                      // 000000002DBC: 7F320280
	v_mov_b32_e32 v106, 0                                      // 000000002DC0: 7ED40280
	v_mov_b32_e32 v154, 0                                      // 000000002DC4: 7F340280
	v_mov_b32_e32 v107, 0                                      // 000000002DC8: 7ED60280
	v_mov_b32_e32 v155, 0                                      // 000000002DCC: 7F360280
	v_mov_b32_e32 v108, 0                                      // 000000002DD0: 7ED80280
	v_mov_b32_e32 v156, 0                                      // 000000002DD4: 7F380280
	v_mov_b32_e32 v109, 0                                      // 000000002DD8: 7EDA0280
	v_mov_b32_e32 v157, 0                                      // 000000002DDC: 7F3A0280
	v_mov_b32_e32 v110, 0                                      // 000000002DE0: 7EDC0280
	v_mov_b32_e32 v158, 0                                      // 000000002DE4: 7F3C0280
	v_mov_b32_e32 v111, 0                                      // 000000002DE8: 7EDE0280
	v_mov_b32_e32 v159, 0                                      // 000000002DEC: 7F3E0280
	v_mov_b32_e32 v112, 0                                      // 000000002DF0: 7EE00280
	v_mov_b32_e32 v160, 0                                      // 000000002DF4: 7F400280
	v_mov_b32_e32 v113, 0                                      // 000000002DF8: 7EE20280
	v_mov_b32_e32 v161, 0                                      // 000000002DFC: 7F420280
	v_mov_b32_e32 v114, 0                                      // 000000002E00: 7EE40280
	v_mov_b32_e32 v162, 0                                      // 000000002E04: 7F440280
	v_mov_b32_e32 v115, 0                                      // 000000002E08: 7EE60280
	v_mov_b32_e32 v163, 0                                      // 000000002E0C: 7F460280
	s_mul_i32 s60, s2, 0x100                                   // 000000002E10: 923CFF02 00000100
	s_cmp_eq_u32 s88, 0                                        // 000000002E18: BF068058
	s_cselect_b32 s61, 1, 2                                    // 000000002E1C: 853D8281
	s_mul_i32 s60, s60, s61                                    // 000000002E20: 923C3D3C
	s_mov_b32 s90, s8                                          // 000000002E24: BEDA0008
	s_mov_b32 s91, s9                                          // 000000002E28: BEDB0009
	s_add_u32 s8, s60, s8                                      // 000000002E2C: 8008083C
	s_addc_u32 s9, 0, s9                                       // 000000002E30: 82090980
	v_lshrrev_b32_e32 v4, 4, v0                                // 000000002E34: 20080084
	v_mul_lo_u32 v20, 34, v4                                   // 000000002E38: D2850014 000208A2
	v_and_b32_e32 v4, 15, v0                                   // 000000002E40: 2608008F
	v_mul_lo_u32 v5, 2, v4                                     // 000000002E44: D2850005 00020882
	v_add_u32_e32 v20, v5, v20                                 // 000000002E4C: 68282905
	s_mul_i32 s60, s7, 0x88                                    // 000000002E50: 923CFF07 00000088
	v_add_u32_e32 v20, s60, v20                                // 000000002E58: 6828283C
	v_lshlrev_b32_e32 v20, 2, v20                              // 000000002E5C: 24282882
	v_and_b32_e32 v4, 31, v0                                   // 000000002E60: 2608009F
	v_lshrrev_b32_e32 v4, 1, v4                                // 000000002E64: 20080881
	v_mul_lo_u32 v21, 34, v4                                   // 000000002E68: D2850015 000208A2
	v_lshrrev_b32_e32 v4, 5, v0                                // 000000002E70: 20080085
	v_mul_lo_u32 v4, 8, v4                                     // 000000002E74: D2850004 00020888
	v_add_u32_e32 v21, v21, v4                                 // 000000002E7C: 682A0915
	v_and_b32_e32 v5, 1, v0                                    // 000000002E80: 260A0081
	v_add_u32_e32 v21, v5, v21                                 // 000000002E84: 682A2B05
	s_mul_i32 s60, s7, 2                                       // 000000002E88: 923C8207
	v_add_u32_e32 v21, s60, v21                                // 000000002E8C: 682A2A3C
	v_lshlrev_b32_e32 v21, 2, v21                              // 000000002E90: 242A2A82
	s_mul_i32 s60, s7, 0xc20                                   // 000000002E94: 923CFF07 00000C20
	s_add_u32 s48, 0, s60                                      // 000000002E9C: 80303C80
	s_add_u32 s49, 0x3080, s48                                 // 000000002EA0: 803130FF 00003080
	s_add_u32 s50, 0x3080, s49                                 // 000000002EA8: 803231FF 00003080
	v_lshrrev_b32_e32 v4, 4, v0                                // 000000002EB0: 20080084
	v_lshlrev_b32_e32 v5, 2, v4                                // 000000002EB4: 240A0882
	v_and_b32_e32 v4, 15, v0                                   // 000000002EB8: 2608008F
	v_lshrrev_b32_e32 v6, 2, v4                                // 000000002EBC: 200C0882
	v_lshlrev_b32_e32 v6, 5, v6                                // 000000002EC0: 240C0C85
	v_add_u32_e32 v5, v6, v5                                   // 000000002EC4: 680A0B06
	v_and_b32_e32 v4, 3, v0                                    // 000000002EC8: 26080083
	v_mul_u32_u24_e32 v6, 0x308, v4                            // 000000002ECC: 100C08FF 00000308
	v_add_u32_e32 v5, v6, v5                                   // 000000002ED4: 680A0B06
	v_lshlrev_b32_e32 v2, 2, v5                                // 000000002ED8: 24040A82
	s_waitcnt lgkmcnt(0)                                       // 000000002EDC: BF8CC07F
	s_mul_i32 s60, s2, 0x80                                    // 000000002EE0: 923CFF02 00000080
	s_mul_i32 s60, s60, s69                                    // 000000002EE8: 923C453C
	s_mul_i32 s61, s5, s72                                     // 000000002EEC: 923D4805
	s_add_u32 s60, s61, s60                                    // 000000002EF0: 803C3C3D
	s_add_u32 s24, s60, s24                                    // 000000002EF4: 8018183C
	s_addc_u32 s25, 0, s25                                     // 000000002EF8: 82191980
	s_lshr_b32 s60, s64, s88                                   // 000000002EFC: 8F3C5840
	s_mul_i32 s60, s4, s60                                     // 000000002F00: 923C3C04
	s_lshr_b32 s60, s60, 7                                     // 000000002F04: 8F3C873C
	s_mul_i32 s60, s60, 0x800                                  // 000000002F08: 923CFF3C 00000800
	s_add_u32 s24, s60, s24                                    // 000000002F10: 8018183C
	s_addc_u32 s25, 0, s25                                     // 000000002F14: 82191980
	s_lshr_b32 s60, s69, s88                                   // 000000002F18: 8F3C5845
	s_mul_i32 s60, s4, s60                                     // 000000002F1C: 923C3C04
	s_add_u32 s20, s60, s20                                    // 000000002F20: 8014143C
	s_addc_u32 s21, 0, s21                                     // 000000002F24: 82151580
	s_mul_i32 s60, s7, 16                                      // 000000002F28: 923C9007
	s_mul_i32 s60, s60, s69                                    // 000000002F2C: 923C453C
	v_lshlrev_b32_e32 v66, 4, v0                               // 000000002F30: 24840084
	v_add_u32_e32 v66, s60, v66                                // 000000002F34: 6884843C
	s_mul_i32 s60, 64, s69                                     // 000000002F38: 923C45C0
	v_add_u32_e32 v67, s60, v66                                // 000000002F3C: 6886843C
	s_mov_b32 s84, s24                                         // 000000002F40: BED40018
	s_mov_b32 s85, s25                                         // 000000002F44: BED50019
	s_mov_b32 s86, s26                                         // 000000002F48: BED6001A
	s_mov_b32 s87, s27                                         // 000000002F4C: BED7001B
	s_mul_i32 s60, s69, s65                                    // 000000002F50: 923C4145
	s_add_u32 s84, s60, s84                                    // 000000002F54: 8054543C
	s_addc_u32 s85, 0, s85                                     // 000000002F58: 82555580
	v_lshrrev_b32_e32 v4, 4, v0                                // 000000002F5C: 20080084
	v_lshlrev_b32_e32 v5, 2, v4                                // 000000002F60: 240A0882
	v_and_b32_e32 v4, 15, v0                                   // 000000002F64: 2608008F
	v_lshrrev_b32_e32 v6, 2, v4                                // 000000002F68: 200C0882
	v_lshlrev_b32_e32 v6, 6, v6                                // 000000002F6C: 240C0C86
	v_add_u32_e32 v5, v6, v5                                   // 000000002F70: 680A0B06
	v_and_b32_e32 v4, 3, v0                                    // 000000002F74: 26080083
	v_add_u32_e32 v5, v4, v5                                   // 000000002F78: 680A0B04
	v_lshlrev_b32_e32 v22, 2, v5                               // 000000002F7C: 242C0A82
	s_mul_i32 s60, s7, 16                                      // 000000002F80: 923C9007
	s_mul_i32 s60, s60, 4                                      // 000000002F84: 923C843C
	v_add_u32_e32 v22, s60, v22                                // 000000002F88: 682C2C3C
	s_mul_i32 s60, s2, 0x80                                    // 000000002F8C: 923CFF02 00000080
	s_mul_i32 s60, s60, 4                                      // 000000002F94: 923C843C
	s_mul_i32 s61, s5, s74                                     // 000000002F98: 923D4A05
	s_add_u32 s61, s61, s60                                    // 000000002F9C: 803D3C3D
	s_add_u32 s32, s61, s32                                    // 000000002FA0: 8020203D
	s_addc_u32 s33, 0, s33                                     // 000000002FA4: 82212180
	s_mov_b32 s57, 0x80                                        // 000000002FA8: BEB900FF 00000080
	s_mov_b32 s58, 0x800                                       // 000000002FB0: BEBA00FF 00000800
	s_mov_b32 s83, s58                                         // 000000002FB8: BED3003A
	s_mov_b32 s52, 0x7060302                                   // 000000002FBC: BEB400FF 07060302
	s_mov_b32 s53, 0x400                                       // 000000002FC4: BEB500FF 00000400
	s_mov_b32 s54, 0x40100                                     // 000000002FCC: BEB600FF 00040100
	s_mov_b32 s55, 0x4020100                                   // 000000002FD4: BEB700FF 04020100
	s_mov_b32 s6, 0x3fb8aa3b                                   // 000000002FDC: BE8600FF 3FB8AA3B
	s_mov_b32 s78, 0xbd92220c                                  // 000000002FE4: BECE00FF BD92220C
	s_mov_b32 s79, 0xbd92220c                                  // 000000002FEC: BECF00FF BD92220C
	s_mov_b32 m0, s48                                          // 000000002FF4: BEFC0030
	v_mov_b32_e32 v1, 0xbfcc4231                               // 000000002FF8: 7E0202FF BFCC4231
	v_mov_b32_e32 v17, 0xffff0000                              // 000000003000: 7E2202FF FFFF0000
	v_mov_b32_e32 v18, 0x7fff0000                              // 000000003008: 7E2402FF 7FFF0000
	v_mov_b32_e32 v19, 0x7fff                                  // 000000003010: 7E2602FF 00007FFF
	s_waitcnt vmcnt(0) expcnt(0) lgkmcnt(0)                    // 000000003018: BF8C0000
	v_lshrrev_b32_e32 v4, 5, v0                                // 00000000301C: 20080085
	v_xor_b32_e32 v5, 1, v4                                    // 000000003020: 2A0A0881
	v_readlane_b32 s82, v3, 0                                  // 000000003024: D2890052 00010103
	s_and_b32 s82, s82, 0xffffff                               // 00000000302C: 8652FF52 00FFFFFF
	v_mul_lo_u32 v6, v5, s82                                   // 000000003034: D2850006 0000A505
	v_readlane_b32 s82, v3, 1                                  // 00000000303C: D2890052 00010303
	s_and_b32 s82, s82, 0xffffff                               // 000000003044: 8652FF52 00FFFFFF
	v_mul_lo_u32 v7, v4, s82                                   // 00000000304C: D2850007 0000A504
	v_add_u32_e32 v54, v6, v7                                  // 000000003054: 686C0F06
	v_mul_lo_u32 v54, v54, s68                                 // 000000003058: D2850036 00008936
	v_readlane_b32 s82, v3, 2                                  // 000000003060: D2890052 00010503
	s_and_b32 s82, s82, 0xffffff                               // 000000003068: 8652FF52 00FFFFFF
	v_mul_lo_u32 v6, v5, s82                                   // 000000003070: D2850006 0000A505
	v_readlane_b32 s82, v3, 3                                  // 000000003078: D2890052 00010703
	s_and_b32 s82, s82, 0xffffff                               // 000000003080: 8652FF52 00FFFFFF
	v_mul_lo_u32 v7, v4, s82                                   // 000000003088: D2850007 0000A504
	v_add_u32_e32 v55, v6, v7                                  // 000000003090: 686E0F06
	v_mul_lo_u32 v55, v55, s68                                 // 000000003094: D2850037 00008937
	v_readlane_b32 s82, v3, 4                                  // 00000000309C: D2890052 00010903
	s_and_b32 s82, s82, 0xffffff                               // 0000000030A4: 8652FF52 00FFFFFF
	v_mul_lo_u32 v6, v5, s82                                   // 0000000030AC: D2850006 0000A505
	v_readlane_b32 s82, v3, 5                                  // 0000000030B4: D2890052 00010B03
	s_and_b32 s82, s82, 0xffffff                               // 0000000030BC: 8652FF52 00FFFFFF
	v_mul_lo_u32 v7, v4, s82                                   // 0000000030C4: D2850007 0000A504
	v_add_u32_e32 v56, v6, v7                                  // 0000000030CC: 68700F06
	v_mul_lo_u32 v56, v56, s68                                 // 0000000030D0: D2850038 00008938
	v_readlane_b32 s82, v3, 6                                  // 0000000030D8: D2890052 00010D03
	s_and_b32 s82, s82, 0xffffff                               // 0000000030E0: 8652FF52 00FFFFFF
	v_mul_lo_u32 v6, v5, s82                                   // 0000000030E8: D2850006 0000A505
	v_readlane_b32 s82, v3, 7                                  // 0000000030F0: D2890052 00010F03
	s_and_b32 s82, s82, 0xffffff                               // 0000000030F8: 8652FF52 00FFFFFF
	v_mul_lo_u32 v7, v4, s82                                   // 000000003100: D2850007 0000A504
	v_add_u32_e32 v57, v6, v7                                  // 000000003108: 68720F06
	v_mul_lo_u32 v57, v57, s68                                 // 00000000310C: D2850039 00008939
	v_readlane_b32 s82, v3, 8                                  // 000000003114: D2890052 00011103
	s_and_b32 s82, s82, 0xffffff                               // 00000000311C: 8652FF52 00FFFFFF
	v_mul_lo_u32 v6, v5, s82                                   // 000000003124: D2850006 0000A505
	v_readlane_b32 s82, v3, 9                                  // 00000000312C: D2890052 00011303
	s_and_b32 s82, s82, 0xffffff                               // 000000003134: 8652FF52 00FFFFFF
	v_mul_lo_u32 v7, v4, s82                                   // 00000000313C: D2850007 0000A504
	v_add_u32_e32 v58, v6, v7                                  // 000000003144: 68740F06
	v_mul_lo_u32 v58, v58, s68                                 // 000000003148: D285003A 0000893A
	v_readlane_b32 s82, v3, 10                                 // 000000003150: D2890052 00011503
	s_and_b32 s82, s82, 0xffffff                               // 000000003158: 8652FF52 00FFFFFF
	v_mul_lo_u32 v6, v5, s82                                   // 000000003160: D2850006 0000A505
	v_readlane_b32 s82, v3, 11                                 // 000000003168: D2890052 00011703
	s_and_b32 s82, s82, 0xffffff                               // 000000003170: 8652FF52 00FFFFFF
	v_mul_lo_u32 v7, v4, s82                                   // 000000003178: D2850007 0000A504
	v_add_u32_e32 v59, v6, v7                                  // 000000003180: 68760F06
	v_mul_lo_u32 v59, v59, s68                                 // 000000003184: D285003B 0000893B
	v_readlane_b32 s82, v3, 12                                 // 00000000318C: D2890052 00011903
	s_and_b32 s82, s82, 0xffffff                               // 000000003194: 8652FF52 00FFFFFF
	v_mul_lo_u32 v6, v5, s82                                   // 00000000319C: D2850006 0000A505
	v_readlane_b32 s82, v3, 13                                 // 0000000031A4: D2890052 00011B03
	s_and_b32 s82, s82, 0xffffff                               // 0000000031AC: 8652FF52 00FFFFFF
	v_mul_lo_u32 v7, v4, s82                                   // 0000000031B4: D2850007 0000A504
	v_add_u32_e32 v60, v6, v7                                  // 0000000031BC: 68780F06
	v_mul_lo_u32 v60, v60, s68                                 // 0000000031C0: D285003C 0000893C
	v_readlane_b32 s82, v3, 14                                 // 0000000031C8: D2890052 00011D03
	s_and_b32 s82, s82, 0xffffff                               // 0000000031D0: 8652FF52 00FFFFFF
	v_mul_lo_u32 v6, v5, s82                                   // 0000000031D8: D2850006 0000A505
	v_readlane_b32 s82, v3, 15                                 // 0000000031E0: D2890052 00011F03
	s_and_b32 s82, s82, 0xffffff                               // 0000000031E8: 8652FF52 00FFFFFF
	v_mul_lo_u32 v7, v4, s82                                   // 0000000031F0: D2850007 0000A504
	v_add_u32_e32 v61, v6, v7                                  // 0000000031F8: 687A0F06
	v_mul_lo_u32 v61, v61, s68                                 // 0000000031FC: D285003D 0000893D
	v_readlane_b32 s82, v3, 16                                 // 000000003204: D2890052 00012103
	s_and_b32 s82, s82, 0xffffff                               // 00000000320C: 8652FF52 00FFFFFF
	v_mul_lo_u32 v6, v5, s82                                   // 000000003214: D2850006 0000A505
	v_readlane_b32 s82, v3, 17                                 // 00000000321C: D2890052 00012303
	s_and_b32 s82, s82, 0xffffff                               // 000000003224: 8652FF52 00FFFFFF
	v_mul_lo_u32 v7, v4, s82                                   // 00000000322C: D2850007 0000A504
	v_add_u32_e32 v62, v6, v7                                  // 000000003234: 687C0F06
	v_mul_lo_u32 v62, v62, s68                                 // 000000003238: D285003E 0000893E
	v_readlane_b32 s82, v3, 18                                 // 000000003240: D2890052 00012503
	s_and_b32 s82, s82, 0xffffff                               // 000000003248: 8652FF52 00FFFFFF
	v_mul_lo_u32 v6, v5, s82                                   // 000000003250: D2850006 0000A505
	v_readlane_b32 s82, v3, 19                                 // 000000003258: D2890052 00012703
	s_and_b32 s82, s82, 0xffffff                               // 000000003260: 8652FF52 00FFFFFF
	v_mul_lo_u32 v7, v4, s82                                   // 000000003268: D2850007 0000A504
	v_add_u32_e32 v63, v6, v7                                  // 000000003270: 687E0F06
	v_mul_lo_u32 v63, v63, s68                                 // 000000003274: D285003F 0000893F
	v_readlane_b32 s82, v3, 20                                 // 00000000327C: D2890052 00012903
	s_and_b32 s82, s82, 0xffffff                               // 000000003284: 8652FF52 00FFFFFF
	v_mul_lo_u32 v6, v5, s82                                   // 00000000328C: D2850006 0000A505
	v_readlane_b32 s82, v3, 21                                 // 000000003294: D2890052 00012B03
	s_and_b32 s82, s82, 0xffffff                               // 00000000329C: 8652FF52 00FFFFFF
	v_mul_lo_u32 v7, v4, s82                                   // 0000000032A4: D2850007 0000A504
	v_add_u32_e32 v64, v6, v7                                  // 0000000032AC: 68800F06
	v_mul_lo_u32 v64, v64, s68                                 // 0000000032B0: D2850040 00008940
	v_readlane_b32 s82, v3, 22                                 // 0000000032B8: D2890052 00012D03
	s_and_b32 s82, s82, 0xffffff                               // 0000000032C0: 8652FF52 00FFFFFF
	v_mul_lo_u32 v6, v5, s82                                   // 0000000032C8: D2850006 0000A505
	v_readlane_b32 s82, v3, 23                                 // 0000000032D0: D2890052 00012F03
	s_and_b32 s82, s82, 0xffffff                               // 0000000032D8: 8652FF52 00FFFFFF
	v_mul_lo_u32 v7, v4, s82                                   // 0000000032E0: D2850007 0000A504
	v_add_u32_e32 v65, v6, v7                                  // 0000000032E8: 68820F06
	v_mul_lo_u32 v65, v65, s68                                 // 0000000032EC: D2850041 00008941
	v_and_b32_e32 v4, 31, v0                                   // 0000000032F4: 2608009F
	v_lshlrev_b32_e32 v4, 2, v4                                // 0000000032F8: 24080882
	v_add_u32_e32 v54, v54, v4                                 // 0000000032FC: 686C0936
	v_add_u32_e32 v55, v55, v4                                 // 000000003300: 686E0937
	v_add_u32_e32 v56, v56, v4                                 // 000000003304: 68700938
	v_add_u32_e32 v57, v57, v4                                 // 000000003308: 68720939
	v_add_u32_e32 v58, v58, v4                                 // 00000000330C: 6874093A
	v_add_u32_e32 v59, v59, v4                                 // 000000003310: 6876093B
	v_add_u32_e32 v60, v60, v4                                 // 000000003314: 6878093C
	v_add_u32_e32 v61, v61, v4                                 // 000000003318: 687A093D
	v_add_u32_e32 v62, v62, v4                                 // 00000000331C: 687C093E
	v_add_u32_e32 v63, v63, v4                                 // 000000003320: 687E093F
	v_add_u32_e32 v64, v64, v4                                 // 000000003324: 68800940
	v_add_u32_e32 v65, v65, v4                                 // 000000003328: 68820941
	v_and_b32_e32 v30, 0xffffff, v30                           // 00000000332C: 263C3CFF 00FFFFFF
	v_lshlrev_b32_e32 v30, 2, v30                              // 000000003334: 243C3C82
	v_and_b32_e32 v31, 0xffffff, v31                           // 000000003338: 263E3EFF 00FFFFFF
	v_lshlrev_b32_e32 v31, 2, v31                              // 000000003340: 243E3E82
	v_and_b32_e32 v32, 0xffffff, v32                           // 000000003344: 264040FF 00FFFFFF
	v_lshlrev_b32_e32 v32, 2, v32                              // 00000000334C: 24404082
	v_and_b32_e32 v33, 0xffffff, v33                           // 000000003350: 264242FF 00FFFFFF
	v_lshlrev_b32_e32 v33, 2, v33                              // 000000003358: 24424282
	v_and_b32_e32 v34, 0xffffff, v34                           // 00000000335C: 264444FF 00FFFFFF
	v_lshlrev_b32_e32 v34, 2, v34                              // 000000003364: 24444482
	v_and_b32_e32 v35, 0xffffff, v35                           // 000000003368: 264646FF 00FFFFFF
	v_lshlrev_b32_e32 v35, 2, v35                              // 000000003370: 24464682
	s_lshl_b32 s3, s66, 2                                      // 000000003374: 8E038242
	buffer_load_dword v36, v30, s[28:31], 0 offen              // 000000003378: E0501000 8007241E
	buffer_load_dword v37, v31, s[28:31], 0 offen              // 000000003380: E0501000 8007251F
	buffer_load_dword v38, v32, s[28:31], 0 offen              // 000000003388: E0501000 80072620
	buffer_load_dword v39, v33, s[28:31], 0 offen              // 000000003390: E0501000 80072721
	;; [unrolled: 1-line block ×3, first 2 shown]
	buffer_load_dword v41, v35, s[28:31], 0 offen              // 0000000033A0: E0501000 80072923
	buffer_load_dword v24, v22, s[32:35], 0 offen              // 0000000033A8: E0501000 80081816
	s_mul_i32 s60, 4, s65                                      // 0000000033B0: 923C4184
	s_add_u32 s32, s60, s32                                    // 0000000033B4: 8020203C
	s_addc_u32 s33, 0, s33                                     // 0000000033B8: 82212180
	buffer_load_dword v27, v22, s[32:35], 0 offen              // 0000000033BC: E0501000 80081B16
	buffer_load_dword v54, s[20:23], 0 offen lds               // 0000000033C4: E0511000 80050036
	s_add_u32 m0, 0x100, s48                                   // 0000000033CC: 807C30FF 00000100
	buffer_load_dword v55, s[20:23], 0 offen lds               // 0000000033D4: E0511000 80050037
	s_add_u32 m0, 0x200, s48                                   // 0000000033DC: 807C30FF 00000200
	buffer_load_dword v56, s[20:23], 0 offen lds               // 0000000033E4: E0511000 80050038
	s_add_u32 m0, 0x300, s48                                   // 0000000033EC: 807C30FF 00000300
	buffer_load_dword v57, s[20:23], 0 offen lds               // 0000000033F4: E0511000 80050039
	s_add_u32 m0, 0x400, s48                                   // 0000000033FC: 807C30FF 00000400
	buffer_load_dword v58, s[20:23], 0 offen lds               // 000000003404: E0511000 8005003A
	s_add_u32 m0, 0x500, s48                                   // 00000000340C: 807C30FF 00000500
	buffer_load_dword v59, s[20:23], 0 offen lds               // 000000003414: E0511000 8005003B
	s_add_u32 m0, 0x600, s48                                   // 00000000341C: 807C30FF 00000600
	buffer_load_dword v60, s[20:23], 0 offen lds               // 000000003424: E0511000 8005003C
	s_add_u32 m0, 0x700, s48                                   // 00000000342C: 807C30FF 00000700
	buffer_load_dword v61, s[20:23], 0 offen lds               // 000000003434: E0511000 8005003D
	s_add_u32 m0, 0x800, s48                                   // 00000000343C: 807C30FF 00000800
	buffer_load_dword v62, s[20:23], 0 offen lds               // 000000003444: E0511000 8005003E
	s_add_u32 m0, 0x900, s48                                   // 00000000344C: 807C30FF 00000900
	buffer_load_dword v63, s[20:23], 0 offen lds               // 000000003454: E0511000 8005003F
	s_add_u32 m0, 0xa00, s48                                   // 00000000345C: 807C30FF 00000A00
	buffer_load_dword v64, s[20:23], 0 offen lds               // 000000003464: E0511000 80050040
	s_add_u32 m0, 0xb00, s48                                   // 00000000346C: 807C30FF 00000B00
	buffer_load_dword v65, s[20:23], 0 offen lds               // 000000003474: E0511000 80050041
	s_add_u32 m0, 0, s49                                       // 00000000347C: 807C3180
	s_add_u32 s20, s57, s20                                    // 000000003480: 80141439
	s_addc_u32 s21, 0, s21                                     // 000000003484: 82151580
	buffer_load_dwordx4 a[96:99], v66, s[24:27], 0 offen       // 000000003488: E05C1000 80866042
	buffer_load_dwordx4 a[100:103], v66, s[24:27], 0 offen offset:1024// 000000003490: E05C1400 80866442
	buffer_load_dwordx4 a[104:107], v67, s[24:27], 0 offen     // 000000003498: E05C1000 80866843
	buffer_load_dwordx4 a[108:111], v67, s[24:27], 0 offen offset:1024// 0000000034A0: E05C1400 80866C43
	s_add_u32 s24, s58, s24                                    // 0000000034A8: 8018183A
	s_addc_u32 s25, 0, s25                                     // 0000000034AC: 82191980
	buffer_load_dword v54, s[20:23], 0 offen lds               // 0000000034B0: E0511000 80050036
	s_add_u32 m0, 0x100, s49                                   // 0000000034B8: 807C31FF 00000100
	buffer_load_dword v55, s[20:23], 0 offen lds               // 0000000034C0: E0511000 80050037
	s_add_u32 m0, 0x200, s49                                   // 0000000034C8: 807C31FF 00000200
	buffer_load_dword v56, s[20:23], 0 offen lds               // 0000000034D0: E0511000 80050038
	s_add_u32 m0, 0x300, s49                                   // 0000000034D8: 807C31FF 00000300
	buffer_load_dword v57, s[20:23], 0 offen lds               // 0000000034E0: E0511000 80050039
	s_add_u32 m0, 0x400, s49                                   // 0000000034E8: 807C31FF 00000400
	buffer_load_dword v58, s[20:23], 0 offen lds               // 0000000034F0: E0511000 8005003A
	s_add_u32 m0, 0x500, s49                                   // 0000000034F8: 807C31FF 00000500
	buffer_load_dword v59, s[20:23], 0 offen lds               // 000000003500: E0511000 8005003B
	s_add_u32 m0, 0x600, s49                                   // 000000003508: 807C31FF 00000600
	buffer_load_dword v60, s[20:23], 0 offen lds               // 000000003510: E0511000 8005003C
	s_add_u32 m0, 0x700, s49                                   // 000000003518: 807C31FF 00000700
	buffer_load_dword v61, s[20:23], 0 offen lds               // 000000003520: E0511000 8005003D
	s_add_u32 m0, 0x800, s49                                   // 000000003528: 807C31FF 00000800
	buffer_load_dword v62, s[20:23], 0 offen lds               // 000000003530: E0511000 8005003E
	s_add_u32 m0, 0x900, s49                                   // 000000003538: 807C31FF 00000900
	buffer_load_dword v63, s[20:23], 0 offen lds               // 000000003540: E0511000 8005003F
	s_add_u32 m0, 0xa00, s49                                   // 000000003548: 807C31FF 00000A00
	buffer_load_dword v64, s[20:23], 0 offen lds               // 000000003550: E0511000 80050040
	s_add_u32 m0, 0xb00, s49                                   // 000000003558: 807C31FF 00000B00
	buffer_load_dword v65, s[20:23], 0 offen lds               // 000000003560: E0511000 80050041
	s_add_u32 m0, 0, s50                                       // 000000003568: 807C3280
	s_add_u32 s20, s57, s20                                    // 00000000356C: 80141439
	s_addc_u32 s21, 0, s21                                     // 000000003570: 82151580
	buffer_load_dwordx4 a[112:115], v66, s[84:87], 0 offen     // 000000003574: E05C1000 80957042
	buffer_load_dwordx4 a[116:119], v66, s[84:87], 0 offen offset:1024// 00000000357C: E05C1400 80957442
	buffer_load_dwordx4 a[120:123], v67, s[84:87], 0 offen     // 000000003584: E05C1000 80957843
	buffer_load_dwordx4 a[124:127], v67, s[84:87], 0 offen offset:1024// 00000000358C: E05C1400 80957C43
	s_add_u32 s84, s83, s84                                    // 000000003594: 80545453
	s_addc_u32 s85, 0, s85                                     // 000000003598: 82555580
	s_waitcnt vmcnt(20)                                        // 00000000359C: BF8C4F74
	s_barrier                                                  // 0000000035A0: BF8A0000
	ds_read_b128 a[0:3], v2                                    // 0000000035A4: DBFE0000 00000002
	ds_read_b128 a[4:7], v2 offset:64                          // 0000000035AC: DBFE0040 04000002
	ds_read_b128 a[8:11], v2 offset:512                        // 0000000035B4: DBFE0200 08000002
	ds_read_b128 a[12:15], v2 offset:576                       // 0000000035BC: DBFE0240 0C000002
	ds_read_b128 a[16:19], v2 offset:1024                      // 0000000035C4: DBFE0400 10000002
	ds_read_b128 a[20:23], v2 offset:1088                      // 0000000035CC: DBFE0440 14000002
	ds_read_b128 a[24:27], v2 offset:1536                      // 0000000035D4: DBFE0600 18000002
	ds_read_b128 a[28:31], v2 offset:1600                      // 0000000035DC: DBFE0640 1C000002
	ds_read_b128 a[32:35], v2 offset:2048                      // 0000000035E4: DBFE0800 20000002
	ds_read_b128 a[36:39], v2 offset:2112                      // 0000000035EC: DBFE0840 24000002
	ds_read_b128 a[40:43], v2 offset:2560                      // 0000000035F4: DBFE0A00 28000002
	ds_read_b128 a[44:47], v2 offset:2624                      // 0000000035FC: DBFE0A40 2C000002
	s_cmp_lt_i32 s7, 2                                         // 000000003604: BF048207
	s_cbranch_scc0 label_18D2                                  // 000000003608: BF8415CC

000000000000360c <label_0303>:
	s_waitcnt vmcnt(16) lgkmcnt(0)                             // 00000000360C: BF8C4070
	v_mfma_i32_16x16x32_i8 v[68:71], a[96:97], a[0:1], v[68:71]// 000000003610: D3D70044 1D120160
	v_mfma_i32_16x16x32_i8 v[68:71], a[98:99], a[2:3], v[68:71]// 000000003618: D3D70044 1D120562
	buffer_load_dwordx4 a[128:131], v66, s[24:27], 0 offen     // 000000003620: E05C1000 80868042
	v_mfma_i32_16x16x32_i8 v[68:71], a[100:101], a[4:5], v[68:71]// 000000003628: D3D70044 1D120964
	v_mfma_i32_16x16x32_i8 v[68:71], a[102:103], a[6:7], v[68:71]// 000000003630: D3D70044 1D120D66
	v_mfma_i32_16x16x32_i8 v[92:95], a[104:105], a[0:1], v[92:95]// 000000003638: D3D7005C 1D720168
	v_mfma_i32_16x16x32_i8 v[92:95], a[106:107], a[2:3], v[92:95]// 000000003640: D3D7005C 1D72056A
	buffer_load_dwordx4 a[132:135], v66, s[24:27], 0 offen offset:1024// 000000003648: E05C1400 80868442
	v_mfma_i32_16x16x32_i8 v[92:95], a[108:109], a[4:5], v[92:95]// 000000003650: D3D7005C 1D72096C
	v_mfma_i32_16x16x32_i8 v[92:95], a[110:111], a[6:7], v[92:95]// 000000003658: D3D7005C 1D720D6E
	v_mfma_i32_16x16x32_i8 v[72:75], a[96:97], a[8:9], v[72:75]// 000000003660: D3D70048 1D221160
	v_mfma_i32_16x16x32_i8 v[72:75], a[98:99], a[10:11], v[72:75]// 000000003668: D3D70048 1D221562
	buffer_load_dwordx4 a[136:139], v67, s[24:27], 0 offen     // 000000003670: E05C1000 80868843
	v_mfma_i32_16x16x32_i8 v[72:75], a[100:101], a[12:13], v[72:75]// 000000003678: D3D70048 1D221964
	v_mfma_i32_16x16x32_i8 v[72:75], a[102:103], a[14:15], v[72:75]// 000000003680: D3D70048 1D221D66
	v_mfma_i32_16x16x32_i8 v[96:99], a[104:105], a[8:9], v[96:99]// 000000003688: D3D70060 1D821168
	v_mfma_i32_16x16x32_i8 v[96:99], a[106:107], a[10:11], v[96:99]// 000000003690: D3D70060 1D82156A
	buffer_load_dwordx4 a[140:143], v67, s[24:27], 0 offen offset:1024// 000000003698: E05C1400 80868C43
	buffer_load_dword v54, s[20:23], 0 offen lds               // 0000000036A0: E0511000 80050036
	s_add_u32 m0, 0x100, s50                                   // 0000000036A8: 807C32FF 00000100
	v_mfma_i32_16x16x32_i8 v[96:99], a[108:109], a[12:13], v[96:99]// 0000000036B0: D3D70060 1D82196C
	v_mfma_i32_16x16x32_i8 v[96:99], a[110:111], a[14:15], v[96:99]// 0000000036B8: D3D70060 1D821D6E
	buffer_load_dword v55, s[20:23], 0 offen lds               // 0000000036C0: E0511000 80050037
	s_add_u32 m0, 0x200, s50                                   // 0000000036C8: 807C32FF 00000200
	v_mfma_i32_16x16x32_i8 v[76:79], a[96:97], a[16:17], v[76:79]// 0000000036D0: D3D7004C 1D322160
	v_mfma_i32_16x16x32_i8 v[76:79], a[98:99], a[18:19], v[76:79]// 0000000036D8: D3D7004C 1D322562
	buffer_load_dword v56, s[20:23], 0 offen lds               // 0000000036E0: E0511000 80050038
	s_add_u32 m0, 0x300, s50                                   // 0000000036E8: 807C32FF 00000300
	v_mfma_i32_16x16x32_i8 v[76:79], a[100:101], a[20:21], v[76:79]// 0000000036F0: D3D7004C 1D322964
	v_mfma_i32_16x16x32_i8 v[76:79], a[102:103], a[22:23], v[76:79]// 0000000036F8: D3D7004C 1D322D66
	buffer_load_dword v57, s[20:23], 0 offen lds               // 000000003700: E0511000 80050039
	s_add_u32 m0, 0x400, s50                                   // 000000003708: 807C32FF 00000400
	v_mfma_i32_16x16x32_i8 v[100:103], a[104:105], a[16:17], v[100:103]// 000000003710: D3D70064 1D922168
	v_mfma_i32_16x16x32_i8 v[100:103], a[106:107], a[18:19], v[100:103]// 000000003718: D3D70064 1D92256A
	buffer_load_dword v58, s[20:23], 0 offen lds               // 000000003720: E0511000 8005003A
	s_add_u32 m0, 0x500, s50                                   // 000000003728: 807C32FF 00000500
	v_mfma_i32_16x16x32_i8 v[100:103], a[108:109], a[20:21], v[100:103]// 000000003730: D3D70064 1D92296C
	v_mfma_i32_16x16x32_i8 v[100:103], a[110:111], a[22:23], v[100:103]// 000000003738: D3D70064 1D922D6E
	buffer_load_dword v59, s[20:23], 0 offen lds               // 000000003740: E0511000 8005003B
	s_add_u32 m0, 0x600, s50                                   // 000000003748: 807C32FF 00000600
	v_mfma_i32_16x16x32_i8 v[80:83], a[96:97], a[24:25], v[80:83]// 000000003750: D3D70050 1D423160
	v_mfma_i32_16x16x32_i8 v[80:83], a[98:99], a[26:27], v[80:83]// 000000003758: D3D70050 1D423562
	buffer_load_dword v60, s[20:23], 0 offen lds               // 000000003760: E0511000 8005003C
	s_add_u32 m0, 0x700, s50                                   // 000000003768: 807C32FF 00000700
	v_mfma_i32_16x16x32_i8 v[80:83], a[100:101], a[28:29], v[80:83]// 000000003770: D3D70050 1D423964
	v_mfma_i32_16x16x32_i8 v[80:83], a[102:103], a[30:31], v[80:83]// 000000003778: D3D70050 1D423D66
	buffer_load_dword v61, s[20:23], 0 offen lds               // 000000003780: E0511000 8005003D
	s_add_u32 m0, 0x800, s50                                   // 000000003788: 807C32FF 00000800
	v_mfma_i32_16x16x32_i8 v[104:107], a[104:105], a[24:25], v[104:107]// 000000003790: D3D70068 1DA23168
	v_mfma_i32_16x16x32_i8 v[104:107], a[106:107], a[26:27], v[104:107]// 000000003798: D3D70068 1DA2356A
	buffer_load_dword v62, s[20:23], 0 offen lds               // 0000000037A0: E0511000 8005003E
	s_add_u32 m0, 0x900, s50                                   // 0000000037A8: 807C32FF 00000900
	v_mfma_i32_16x16x32_i8 v[104:107], a[108:109], a[28:29], v[104:107]// 0000000037B0: D3D70068 1DA2396C
	v_mfma_i32_16x16x32_i8 v[104:107], a[110:111], a[30:31], v[104:107]// 0000000037B8: D3D70068 1DA23D6E
	buffer_load_dword v63, s[20:23], 0 offen lds               // 0000000037C0: E0511000 8005003F
	s_add_u32 m0, 0xa00, s50                                   // 0000000037C8: 807C32FF 00000A00
	v_mfma_i32_16x16x32_i8 v[84:87], a[96:97], a[32:33], v[84:87]// 0000000037D0: D3D70054 1D524160
	v_mfma_i32_16x16x32_i8 v[84:87], a[98:99], a[34:35], v[84:87]// 0000000037D8: D3D70054 1D524562
	buffer_load_dword v64, s[20:23], 0 offen lds               // 0000000037E0: E0511000 80050040
	s_add_u32 m0, 0xb00, s50                                   // 0000000037E8: 807C32FF 00000B00
	v_mfma_i32_16x16x32_i8 v[84:87], a[100:101], a[36:37], v[84:87]// 0000000037F0: D3D70054 1D524964
	v_mfma_i32_16x16x32_i8 v[84:87], a[102:103], a[38:39], v[84:87]// 0000000037F8: D3D70054 1D524D66
	buffer_load_dword v65, s[20:23], 0 offen lds               // 000000003800: E0511000 80050041
	s_add_u32 m0, 0, s48                                       // 000000003808: 807C3080
	v_mfma_i32_16x16x32_i8 v[108:111], a[104:105], a[32:33], v[108:111]// 00000000380C: D3D7006C 1DB24168
	v_mfma_i32_16x16x32_i8 v[108:111], a[106:107], a[34:35], v[108:111]// 000000003814: D3D7006C 1DB2456A
	v_mfma_i32_16x16x32_i8 v[108:111], a[108:109], a[36:37], v[108:111]// 00000000381C: D3D7006C 1DB2496C
	v_mfma_i32_16x16x32_i8 v[108:111], a[110:111], a[38:39], v[108:111]// 000000003824: D3D7006C 1DB24D6E
	v_mfma_i32_16x16x32_i8 v[88:91], a[96:97], a[40:41], v[88:91]// 00000000382C: D3D70058 1D625160
	v_mfma_i32_16x16x32_i8 v[88:91], a[98:99], a[42:43], v[88:91]// 000000003834: D3D70058 1D625562
	v_mfma_i32_16x16x32_i8 v[88:91], a[100:101], a[44:45], v[88:91]// 00000000383C: D3D70058 1D625964
	v_mfma_i32_16x16x32_i8 v[88:91], a[102:103], a[46:47], v[88:91]// 000000003844: D3D70058 1D625D66
	v_mfma_i32_16x16x32_i8 v[112:115], a[104:105], a[40:41], v[112:115]// 00000000384C: D3D70070 1DC25168
	v_mfma_i32_16x16x32_i8 v[112:115], a[106:107], a[42:43], v[112:115]// 000000003854: D3D70070 1DC2556A
	v_mfma_i32_16x16x32_i8 v[112:115], a[108:109], a[44:45], v[112:115]// 00000000385C: D3D70070 1DC2596C
	v_mfma_i32_16x16x32_i8 v[112:115], a[110:111], a[46:47], v[112:115]// 000000003864: D3D70070 1DC25D6E
	s_waitcnt vmcnt(16)                                        // 00000000386C: BF8C4F70
	s_barrier                                                  // 000000003870: BF8A0000
	v_mfma_i32_16x16x32_i8 v[116:119], a[112:113], a[0:1], v[116:119]// 000000003874: D3D70074 1DD20170
	v_mfma_i32_16x16x32_i8 v[116:119], a[114:115], a[2:3], v[116:119]// 00000000387C: D3D70074 1DD20572
	buffer_load_dwordx4 a[96:99], v66, s[84:87], 0 offen       // 000000003884: E05C1000 80956042
	v_mfma_i32_16x16x32_i8 v[116:119], a[116:117], a[4:5], v[116:119]// 00000000388C: D3D70074 1DD20974
	v_mfma_i32_16x16x32_i8 v[116:119], a[118:119], a[6:7], v[116:119]// 000000003894: D3D70074 1DD20D76
	ds_read_b128 a[48:51], v2 offset:12416                     // 00000000389C: DBFE3080 30000002
	ds_read_b128 a[52:55], v2 offset:12480                     // 0000000038A4: DBFE30C0 34000002
	v_mfma_i32_16x16x32_i8 v[140:143], a[120:121], a[0:1], v[140:143]// 0000000038AC: D3D7008C 1E320178
	v_mfma_i32_16x16x32_i8 v[140:143], a[122:123], a[2:3], v[140:143]// 0000000038B4: D3D7008C 1E32057A
	buffer_load_dwordx4 a[100:103], v66, s[84:87], 0 offen offset:1024// 0000000038BC: E05C1400 80956442
	v_mfma_i32_16x16x32_i8 v[140:143], a[124:125], a[4:5], v[140:143]// 0000000038C4: D3D7008C 1E32097C
	v_mfma_i32_16x16x32_i8 v[140:143], a[126:127], a[6:7], v[140:143]// 0000000038CC: D3D7008C 1E320D7E
	ds_read_b128 a[56:59], v2 offset:12928                     // 0000000038D4: DBFE3280 38000002
	ds_read_b128 a[60:63], v2 offset:12992                     // 0000000038DC: DBFE32C0 3C000002
	v_mfma_i32_16x16x32_i8 v[120:123], a[112:113], a[8:9], v[120:123]// 0000000038E4: D3D70078 1DE21170
	v_mfma_i32_16x16x32_i8 v[120:123], a[114:115], a[10:11], v[120:123]// 0000000038EC: D3D70078 1DE21572
	buffer_load_dwordx4 a[104:107], v67, s[84:87], 0 offen     // 0000000038F4: E05C1000 80956843
	v_mfma_i32_16x16x32_i8 v[120:123], a[116:117], a[12:13], v[120:123]// 0000000038FC: D3D70078 1DE21974
	v_mfma_i32_16x16x32_i8 v[120:123], a[118:119], a[14:15], v[120:123]// 000000003904: D3D70078 1DE21D76
	ds_read_b128 a[64:67], v2 offset:13440                     // 00000000390C: DBFE3480 40000002
	ds_read_b128 a[68:71], v2 offset:13504                     // 000000003914: DBFE34C0 44000002
	v_mfma_i32_16x16x32_i8 v[144:147], a[120:121], a[8:9], v[144:147]// 00000000391C: D3D70090 1E421178
	v_mfma_i32_16x16x32_i8 v[144:147], a[122:123], a[10:11], v[144:147]// 000000003924: D3D70090 1E42157A
	buffer_load_dwordx4 a[108:111], v67, s[84:87], 0 offen offset:1024// 00000000392C: E05C1400 80956C43
	v_mfma_i32_16x16x32_i8 v[144:147], a[124:125], a[12:13], v[144:147]// 000000003934: D3D70090 1E42197C
	v_mfma_i32_16x16x32_i8 v[144:147], a[126:127], a[14:15], v[144:147]// 00000000393C: D3D70090 1E421D7E
	ds_read_b128 a[72:75], v2 offset:13952                     // 000000003944: DBFE3680 48000002
	ds_read_b128 a[76:79], v2 offset:14016                     // 00000000394C: DBFE36C0 4C000002
	v_mfma_i32_16x16x32_i8 v[124:127], a[112:113], a[16:17], v[124:127]// 000000003954: D3D7007C 1DF22170
	v_mfma_i32_16x16x32_i8 v[124:127], a[114:115], a[18:19], v[124:127]// 00000000395C: D3D7007C 1DF22572
	v_mfma_i32_16x16x32_i8 v[124:127], a[116:117], a[20:21], v[124:127]// 000000003964: D3D7007C 1DF22974
	v_mfma_i32_16x16x32_i8 v[124:127], a[118:119], a[22:23], v[124:127]// 00000000396C: D3D7007C 1DF22D76
	ds_read_b128 a[80:83], v2 offset:14464                     // 000000003974: DBFE3880 50000002
	ds_read_b128 a[84:87], v2 offset:14528                     // 00000000397C: DBFE38C0 54000002
	v_mfma_i32_16x16x32_i8 v[148:151], a[120:121], a[16:17], v[148:151]// 000000003984: D3D70094 1E522178
	v_mfma_i32_16x16x32_i8 v[148:151], a[122:123], a[18:19], v[148:151]// 00000000398C: D3D70094 1E52257A
	v_mfma_i32_16x16x32_i8 v[148:151], a[124:125], a[20:21], v[148:151]// 000000003994: D3D70094 1E52297C
	v_mfma_i32_16x16x32_i8 v[148:151], a[126:127], a[22:23], v[148:151]// 00000000399C: D3D70094 1E522D7E
	ds_read_b128 a[88:91], v2 offset:14976                     // 0000000039A4: DBFE3A80 58000002
	ds_read_b128 a[92:95], v2 offset:15040                     // 0000000039AC: DBFE3AC0 5C000002
	v_mfma_i32_16x16x32_i8 v[128:131], a[112:113], a[24:25], v[128:131]// 0000000039B4: D3D70080 1E023170
	v_mfma_i32_16x16x32_i8 v[128:131], a[114:115], a[26:27], v[128:131]// 0000000039BC: D3D70080 1E023572
	v_mfma_i32_16x16x32_i8 v[128:131], a[116:117], a[28:29], v[128:131]// 0000000039C4: D3D70080 1E023974
	v_mfma_i32_16x16x32_i8 v[128:131], a[118:119], a[30:31], v[128:131]// 0000000039CC: D3D70080 1E023D76
	v_mfma_i32_16x16x32_i8 v[152:155], a[120:121], a[24:25], v[152:155]// 0000000039D4: D3D70098 1E623178
	v_mfma_i32_16x16x32_i8 v[152:155], a[122:123], a[26:27], v[152:155]// 0000000039DC: D3D70098 1E62357A
	v_mfma_i32_16x16x32_i8 v[152:155], a[124:125], a[28:29], v[152:155]// 0000000039E4: D3D70098 1E62397C
	v_mfma_i32_16x16x32_i8 v[152:155], a[126:127], a[30:31], v[152:155]// 0000000039EC: D3D70098 1E623D7E
	v_mfma_i32_16x16x32_i8 v[132:135], a[112:113], a[32:33], v[132:135]// 0000000039F4: D3D70084 1E124170
	v_mfma_i32_16x16x32_i8 v[132:135], a[114:115], a[34:35], v[132:135]// 0000000039FC: D3D70084 1E124572
	v_mfma_i32_16x16x32_i8 v[132:135], a[116:117], a[36:37], v[132:135]// 000000003A04: D3D70084 1E124974
	v_mfma_i32_16x16x32_i8 v[132:135], a[118:119], a[38:39], v[132:135]// 000000003A0C: D3D70084 1E124D76
	v_mfma_i32_16x16x32_i8 v[156:159], a[120:121], a[32:33], v[156:159]// 000000003A14: D3D7009C 1E724178
	v_mfma_i32_16x16x32_i8 v[156:159], a[122:123], a[34:35], v[156:159]// 000000003A1C: D3D7009C 1E72457A
	v_mfma_i32_16x16x32_i8 v[156:159], a[124:125], a[36:37], v[156:159]// 000000003A24: D3D7009C 1E72497C
	v_mfma_i32_16x16x32_i8 v[156:159], a[126:127], a[38:39], v[156:159]// 000000003A2C: D3D7009C 1E724D7E
	v_mfma_i32_16x16x32_i8 v[136:139], a[112:113], a[40:41], v[136:139]// 000000003A34: D3D70088 1E225170
	s_add_u32 s60, 0x180, s80                                  // 000000003A3C: 803C50FF 00000180
	s_cmp_lt_u32 s60, s81                                      // 000000003A44: BF0A513C
	s_cselect_b32 s57, s57, 0                                  // 000000003A48: 85398039
	v_mfma_i32_16x16x32_i8 v[136:139], a[114:115], a[42:43], v[136:139]// 000000003A4C: D3D70088 1E225572
	s_add_u32 s60, 0x100, s80                                  // 000000003A54: 803C50FF 00000100
	s_cmp_lt_u32 s60, s81                                      // 000000003A5C: BF0A513C
	s_cselect_b32 s58, s58, 0                                  // 000000003A60: 853A803A
	v_mfma_i32_16x16x32_i8 v[136:139], a[116:117], a[44:45], v[136:139]// 000000003A64: D3D70088 1E225974
	s_add_u32 s60, 0x100, s80                                  // 000000003A6C: 803C50FF 00000100
	s_cmp_lt_u32 s60, s81                                      // 000000003A74: BF0A513C
	s_cselect_b32 s83, s83, 0                                  // 000000003A78: 85538053
	v_mfma_i32_16x16x32_i8 v[136:139], a[118:119], a[46:47], v[136:139]// 000000003A7C: D3D70088 1E225D76
	s_add_u32 s24, s58, s24                                    // 000000003A84: 8018183A
	s_addc_u32 s25, 0, s25                                     // 000000003A88: 82191980
	v_mfma_i32_16x16x32_i8 v[160:163], a[120:121], a[40:41], v[160:163]// 000000003A8C: D3D700A0 1E825178
	s_add_u32 s20, s57, s20                                    // 000000003A94: 80141439
	s_addc_u32 s21, 0, s21                                     // 000000003A98: 82151580
	v_mfma_i32_16x16x32_i8 v[160:163], a[122:123], a[42:43], v[160:163]// 000000003A9C: D3D700A0 1E82557A
	s_add_u32 s84, s83, s84                                    // 000000003AA4: 80545453
	s_addc_u32 s85, 0, s85                                     // 000000003AA8: 82555580
	v_mfma_i32_16x16x32_i8 v[160:163], a[124:125], a[44:45], v[160:163]// 000000003AAC: D3D700A0 1E82597C
	v_mfma_i32_16x16x32_i8 v[160:163], a[126:127], a[46:47], v[160:163]// 000000003AB4: D3D700A0 1E825D7E
	s_addk_i32 s80, 0x80                                       // 000000003ABC: B7500080
	s_cmp_lt_i32 s80, s81                                      // 000000003AC0: BF045150
	s_cbranch_scc0 label_0A1E                                  // 000000003AC4: BF8405EC
	s_waitcnt vmcnt(16) lgkmcnt(0)                             // 000000003AC8: BF8C4070
	v_mfma_i32_16x16x32_i8 v[68:71], a[128:129], a[48:49], v[68:71]// 000000003ACC: D3D70044 1D126180
	v_mfma_i32_16x16x32_i8 v[68:71], a[130:131], a[50:51], v[68:71]// 000000003AD4: D3D70044 1D126582
	buffer_load_dwordx4 a[112:115], v66, s[24:27], 0 offen     // 000000003ADC: E05C1000 80867042
	v_mfma_i32_16x16x32_i8 v[68:71], a[132:133], a[52:53], v[68:71]// 000000003AE4: D3D70044 1D126984
	v_mfma_i32_16x16x32_i8 v[68:71], a[134:135], a[54:55], v[68:71]// 000000003AEC: D3D70044 1D126D86
	v_mfma_i32_16x16x32_i8 v[92:95], a[136:137], a[48:49], v[92:95]// 000000003AF4: D3D7005C 1D726188
	v_mfma_i32_16x16x32_i8 v[92:95], a[138:139], a[50:51], v[92:95]// 000000003AFC: D3D7005C 1D72658A
	buffer_load_dwordx4 a[116:119], v66, s[24:27], 0 offen offset:1024// 000000003B04: E05C1400 80867442
	v_mfma_i32_16x16x32_i8 v[92:95], a[140:141], a[52:53], v[92:95]// 000000003B0C: D3D7005C 1D72698C
	v_mfma_i32_16x16x32_i8 v[92:95], a[142:143], a[54:55], v[92:95]// 000000003B14: D3D7005C 1D726D8E
	v_mfma_i32_16x16x32_i8 v[72:75], a[128:129], a[56:57], v[72:75]// 000000003B1C: D3D70048 1D227180
	v_mfma_i32_16x16x32_i8 v[72:75], a[130:131], a[58:59], v[72:75]// 000000003B24: D3D70048 1D227582
	buffer_load_dwordx4 a[120:123], v67, s[24:27], 0 offen     // 000000003B2C: E05C1000 80867843
	v_mfma_i32_16x16x32_i8 v[72:75], a[132:133], a[60:61], v[72:75]// 000000003B34: D3D70048 1D227984
	v_mfma_i32_16x16x32_i8 v[72:75], a[134:135], a[62:63], v[72:75]// 000000003B3C: D3D70048 1D227D86
	v_mfma_i32_16x16x32_i8 v[96:99], a[136:137], a[56:57], v[96:99]// 000000003B44: D3D70060 1D827188
	v_mfma_i32_16x16x32_i8 v[96:99], a[138:139], a[58:59], v[96:99]// 000000003B4C: D3D70060 1D82758A
	buffer_load_dwordx4 a[124:127], v67, s[24:27], 0 offen offset:1024// 000000003B54: E05C1400 80867C43
	buffer_load_dword v54, s[20:23], 0 offen lds               // 000000003B5C: E0511000 80050036
	s_add_u32 m0, 0x100, s48                                   // 000000003B64: 807C30FF 00000100
	v_mfma_i32_16x16x32_i8 v[96:99], a[140:141], a[60:61], v[96:99]// 000000003B6C: D3D70060 1D82798C
	v_mfma_i32_16x16x32_i8 v[96:99], a[142:143], a[62:63], v[96:99]// 000000003B74: D3D70060 1D827D8E
	buffer_load_dword v55, s[20:23], 0 offen lds               // 000000003B7C: E0511000 80050037
	s_add_u32 m0, 0x200, s48                                   // 000000003B84: 807C30FF 00000200
	v_mfma_i32_16x16x32_i8 v[76:79], a[128:129], a[64:65], v[76:79]// 000000003B8C: D3D7004C 1D328180
	v_mfma_i32_16x16x32_i8 v[76:79], a[130:131], a[66:67], v[76:79]// 000000003B94: D3D7004C 1D328582
	buffer_load_dword v56, s[20:23], 0 offen lds               // 000000003B9C: E0511000 80050038
	s_add_u32 m0, 0x300, s48                                   // 000000003BA4: 807C30FF 00000300
	v_mfma_i32_16x16x32_i8 v[76:79], a[132:133], a[68:69], v[76:79]// 000000003BAC: D3D7004C 1D328984
	v_mfma_i32_16x16x32_i8 v[76:79], a[134:135], a[70:71], v[76:79]// 000000003BB4: D3D7004C 1D328D86
	buffer_load_dword v57, s[20:23], 0 offen lds               // 000000003BBC: E0511000 80050039
	s_add_u32 m0, 0x400, s48                                   // 000000003BC4: 807C30FF 00000400
	v_mfma_i32_16x16x32_i8 v[100:103], a[136:137], a[64:65], v[100:103]// 000000003BCC: D3D70064 1D928188
	v_mfma_i32_16x16x32_i8 v[100:103], a[138:139], a[66:67], v[100:103]// 000000003BD4: D3D70064 1D92858A
	buffer_load_dword v58, s[20:23], 0 offen lds               // 000000003BDC: E0511000 8005003A
	s_add_u32 m0, 0x500, s48                                   // 000000003BE4: 807C30FF 00000500
	v_mfma_i32_16x16x32_i8 v[100:103], a[140:141], a[68:69], v[100:103]// 000000003BEC: D3D70064 1D92898C
	v_mfma_i32_16x16x32_i8 v[100:103], a[142:143], a[70:71], v[100:103]// 000000003BF4: D3D70064 1D928D8E
	buffer_load_dword v59, s[20:23], 0 offen lds               // 000000003BFC: E0511000 8005003B
	s_add_u32 m0, 0x600, s48                                   // 000000003C04: 807C30FF 00000600
	v_mfma_i32_16x16x32_i8 v[80:83], a[128:129], a[72:73], v[80:83]// 000000003C0C: D3D70050 1D429180
	v_mfma_i32_16x16x32_i8 v[80:83], a[130:131], a[74:75], v[80:83]// 000000003C14: D3D70050 1D429582
	buffer_load_dword v60, s[20:23], 0 offen lds               // 000000003C1C: E0511000 8005003C
	s_add_u32 m0, 0x700, s48                                   // 000000003C24: 807C30FF 00000700
	v_mfma_i32_16x16x32_i8 v[80:83], a[132:133], a[76:77], v[80:83]// 000000003C2C: D3D70050 1D429984
	v_mfma_i32_16x16x32_i8 v[80:83], a[134:135], a[78:79], v[80:83]// 000000003C34: D3D70050 1D429D86
	buffer_load_dword v61, s[20:23], 0 offen lds               // 000000003C3C: E0511000 8005003D
	s_add_u32 m0, 0x800, s48                                   // 000000003C44: 807C30FF 00000800
	v_mfma_i32_16x16x32_i8 v[104:107], a[136:137], a[72:73], v[104:107]// 000000003C4C: D3D70068 1DA29188
	v_mfma_i32_16x16x32_i8 v[104:107], a[138:139], a[74:75], v[104:107]// 000000003C54: D3D70068 1DA2958A
	buffer_load_dword v62, s[20:23], 0 offen lds               // 000000003C5C: E0511000 8005003E
	s_add_u32 m0, 0x900, s48                                   // 000000003C64: 807C30FF 00000900
	v_mfma_i32_16x16x32_i8 v[104:107], a[140:141], a[76:77], v[104:107]// 000000003C6C: D3D70068 1DA2998C
	v_mfma_i32_16x16x32_i8 v[104:107], a[142:143], a[78:79], v[104:107]// 000000003C74: D3D70068 1DA29D8E
	buffer_load_dword v63, s[20:23], 0 offen lds               // 000000003C7C: E0511000 8005003F
	s_add_u32 m0, 0xa00, s48                                   // 000000003C84: 807C30FF 00000A00
	v_mfma_i32_16x16x32_i8 v[84:87], a[128:129], a[80:81], v[84:87]// 000000003C8C: D3D70054 1D52A180
	v_mfma_i32_16x16x32_i8 v[84:87], a[130:131], a[82:83], v[84:87]// 000000003C94: D3D70054 1D52A582
	buffer_load_dword v64, s[20:23], 0 offen lds               // 000000003C9C: E0511000 80050040
	s_add_u32 m0, 0xb00, s48                                   // 000000003CA4: 807C30FF 00000B00
	v_mfma_i32_16x16x32_i8 v[84:87], a[132:133], a[84:85], v[84:87]// 000000003CAC: D3D70054 1D52A984
	v_mfma_i32_16x16x32_i8 v[84:87], a[134:135], a[86:87], v[84:87]// 000000003CB4: D3D70054 1D52AD86
	buffer_load_dword v65, s[20:23], 0 offen lds               // 000000003CBC: E0511000 80050041
	s_add_u32 m0, 0, s49                                       // 000000003CC4: 807C3180
	v_mfma_i32_16x16x32_i8 v[108:111], a[136:137], a[80:81], v[108:111]// 000000003CC8: D3D7006C 1DB2A188
	v_mfma_i32_16x16x32_i8 v[108:111], a[138:139], a[82:83], v[108:111]// 000000003CD0: D3D7006C 1DB2A58A
	v_mfma_i32_16x16x32_i8 v[108:111], a[140:141], a[84:85], v[108:111]// 000000003CD8: D3D7006C 1DB2A98C
	v_mfma_i32_16x16x32_i8 v[108:111], a[142:143], a[86:87], v[108:111]// 000000003CE0: D3D7006C 1DB2AD8E
	v_mfma_i32_16x16x32_i8 v[88:91], a[128:129], a[88:89], v[88:91]// 000000003CE8: D3D70058 1D62B180
	v_mfma_i32_16x16x32_i8 v[88:91], a[130:131], a[90:91], v[88:91]// 000000003CF0: D3D70058 1D62B582
	v_mfma_i32_16x16x32_i8 v[88:91], a[132:133], a[92:93], v[88:91]// 000000003CF8: D3D70058 1D62B984
	v_mfma_i32_16x16x32_i8 v[88:91], a[134:135], a[94:95], v[88:91]// 000000003D00: D3D70058 1D62BD86
	v_mfma_i32_16x16x32_i8 v[112:115], a[136:137], a[88:89], v[112:115]// 000000003D08: D3D70070 1DC2B188
	v_mfma_i32_16x16x32_i8 v[112:115], a[138:139], a[90:91], v[112:115]// 000000003D10: D3D70070 1DC2B58A
	v_mfma_i32_16x16x32_i8 v[112:115], a[140:141], a[92:93], v[112:115]// 000000003D18: D3D70070 1DC2B98C
	v_mfma_i32_16x16x32_i8 v[112:115], a[142:143], a[94:95], v[112:115]// 000000003D20: D3D70070 1DC2BD8E
	s_waitcnt vmcnt(16)                                        // 000000003D28: BF8C4F70
	s_barrier                                                  // 000000003D2C: BF8A0000
	v_mfma_i32_16x16x32_i8 v[116:119], a[96:97], a[48:49], v[116:119]// 000000003D30: D3D70074 1DD26160
	v_mfma_i32_16x16x32_i8 v[116:119], a[98:99], a[50:51], v[116:119]// 000000003D38: D3D70074 1DD26562
	buffer_load_dwordx4 a[128:131], v66, s[84:87], 0 offen     // 000000003D40: E05C1000 80958042
	v_mfma_i32_16x16x32_i8 v[116:119], a[100:101], a[52:53], v[116:119]// 000000003D48: D3D70074 1DD26964
	v_mfma_i32_16x16x32_i8 v[116:119], a[102:103], a[54:55], v[116:119]// 000000003D50: D3D70074 1DD26D66
	ds_read_b128 a[0:3], v2 offset:24832                       // 000000003D58: DBFE6100 00000002
	ds_read_b128 a[4:7], v2 offset:24896                       // 000000003D60: DBFE6140 04000002
	v_mfma_i32_16x16x32_i8 v[140:143], a[104:105], a[48:49], v[140:143]// 000000003D68: D3D7008C 1E326168
	v_mfma_i32_16x16x32_i8 v[140:143], a[106:107], a[50:51], v[140:143]// 000000003D70: D3D7008C 1E32656A
	buffer_load_dwordx4 a[132:135], v66, s[84:87], 0 offen offset:1024// 000000003D78: E05C1400 80958442
	v_mfma_i32_16x16x32_i8 v[140:143], a[108:109], a[52:53], v[140:143]// 000000003D80: D3D7008C 1E32696C
	v_mfma_i32_16x16x32_i8 v[140:143], a[110:111], a[54:55], v[140:143]// 000000003D88: D3D7008C 1E326D6E
	ds_read_b128 a[8:11], v2 offset:25344                      // 000000003D90: DBFE6300 08000002
	ds_read_b128 a[12:15], v2 offset:25408                     // 000000003D98: DBFE6340 0C000002
	v_mfma_i32_16x16x32_i8 v[120:123], a[96:97], a[56:57], v[120:123]// 000000003DA0: D3D70078 1DE27160
	v_mfma_i32_16x16x32_i8 v[120:123], a[98:99], a[58:59], v[120:123]// 000000003DA8: D3D70078 1DE27562
	buffer_load_dwordx4 a[136:139], v67, s[84:87], 0 offen     // 000000003DB0: E05C1000 80958843
	v_mfma_i32_16x16x32_i8 v[120:123], a[100:101], a[60:61], v[120:123]// 000000003DB8: D3D70078 1DE27964
	v_mfma_i32_16x16x32_i8 v[120:123], a[102:103], a[62:63], v[120:123]// 000000003DC0: D3D70078 1DE27D66
	ds_read_b128 a[16:19], v2 offset:25856                     // 000000003DC8: DBFE6500 10000002
	ds_read_b128 a[20:23], v2 offset:25920                     // 000000003DD0: DBFE6540 14000002
	v_mfma_i32_16x16x32_i8 v[144:147], a[104:105], a[56:57], v[144:147]// 000000003DD8: D3D70090 1E427168
	v_mfma_i32_16x16x32_i8 v[144:147], a[106:107], a[58:59], v[144:147]// 000000003DE0: D3D70090 1E42756A
	buffer_load_dwordx4 a[140:143], v67, s[84:87], 0 offen offset:1024// 000000003DE8: E05C1400 80958C43
	v_mfma_i32_16x16x32_i8 v[144:147], a[108:109], a[60:61], v[144:147]// 000000003DF0: D3D70090 1E42796C
	v_mfma_i32_16x16x32_i8 v[144:147], a[110:111], a[62:63], v[144:147]// 000000003DF8: D3D70090 1E427D6E
	ds_read_b128 a[24:27], v2 offset:26368                     // 000000003E00: DBFE6700 18000002
	ds_read_b128 a[28:31], v2 offset:26432                     // 000000003E08: DBFE6740 1C000002
	v_mfma_i32_16x16x32_i8 v[124:127], a[96:97], a[64:65], v[124:127]// 000000003E10: D3D7007C 1DF28160
	v_mfma_i32_16x16x32_i8 v[124:127], a[98:99], a[66:67], v[124:127]// 000000003E18: D3D7007C 1DF28562
	v_mfma_i32_16x16x32_i8 v[124:127], a[100:101], a[68:69], v[124:127]// 000000003E20: D3D7007C 1DF28964
	v_mfma_i32_16x16x32_i8 v[124:127], a[102:103], a[70:71], v[124:127]// 000000003E28: D3D7007C 1DF28D66
	ds_read_b128 a[32:35], v2 offset:26880                     // 000000003E30: DBFE6900 20000002
	ds_read_b128 a[36:39], v2 offset:26944                     // 000000003E38: DBFE6940 24000002
	v_mfma_i32_16x16x32_i8 v[148:151], a[104:105], a[64:65], v[148:151]// 000000003E40: D3D70094 1E528168
	v_mfma_i32_16x16x32_i8 v[148:151], a[106:107], a[66:67], v[148:151]// 000000003E48: D3D70094 1E52856A
	v_mfma_i32_16x16x32_i8 v[148:151], a[108:109], a[68:69], v[148:151]// 000000003E50: D3D70094 1E52896C
	v_mfma_i32_16x16x32_i8 v[148:151], a[110:111], a[70:71], v[148:151]// 000000003E58: D3D70094 1E528D6E
	ds_read_b128 a[40:43], v2 offset:27392                     // 000000003E60: DBFE6B00 28000002
	ds_read_b128 a[44:47], v2 offset:27456                     // 000000003E68: DBFE6B40 2C000002
	v_mfma_i32_16x16x32_i8 v[128:131], a[96:97], a[72:73], v[128:131]// 000000003E70: D3D70080 1E029160
	v_mfma_i32_16x16x32_i8 v[128:131], a[98:99], a[74:75], v[128:131]// 000000003E78: D3D70080 1E029562
	v_mfma_i32_16x16x32_i8 v[128:131], a[100:101], a[76:77], v[128:131]// 000000003E80: D3D70080 1E029964
	v_mfma_i32_16x16x32_i8 v[128:131], a[102:103], a[78:79], v[128:131]// 000000003E88: D3D70080 1E029D66
	v_mfma_i32_16x16x32_i8 v[152:155], a[104:105], a[72:73], v[152:155]// 000000003E90: D3D70098 1E629168
	v_mfma_i32_16x16x32_i8 v[152:155], a[106:107], a[74:75], v[152:155]// 000000003E98: D3D70098 1E62956A
	v_mfma_i32_16x16x32_i8 v[152:155], a[108:109], a[76:77], v[152:155]// 000000003EA0: D3D70098 1E62996C
	v_mfma_i32_16x16x32_i8 v[152:155], a[110:111], a[78:79], v[152:155]// 000000003EA8: D3D70098 1E629D6E
	v_mfma_i32_16x16x32_i8 v[132:135], a[96:97], a[80:81], v[132:135]// 000000003EB0: D3D70084 1E12A160
	v_mfma_i32_16x16x32_i8 v[132:135], a[98:99], a[82:83], v[132:135]// 000000003EB8: D3D70084 1E12A562
	v_mfma_i32_16x16x32_i8 v[132:135], a[100:101], a[84:85], v[132:135]// 000000003EC0: D3D70084 1E12A964
	v_mfma_i32_16x16x32_i8 v[132:135], a[102:103], a[86:87], v[132:135]// 000000003EC8: D3D70084 1E12AD66
	v_mfma_i32_16x16x32_i8 v[156:159], a[104:105], a[80:81], v[156:159]// 000000003ED0: D3D7009C 1E72A168
	v_mfma_i32_16x16x32_i8 v[156:159], a[106:107], a[82:83], v[156:159]// 000000003ED8: D3D7009C 1E72A56A
	v_mfma_i32_16x16x32_i8 v[156:159], a[108:109], a[84:85], v[156:159]// 000000003EE0: D3D7009C 1E72A96C
	v_mfma_i32_16x16x32_i8 v[156:159], a[110:111], a[86:87], v[156:159]// 000000003EE8: D3D7009C 1E72AD6E
	v_mfma_i32_16x16x32_i8 v[136:139], a[96:97], a[88:89], v[136:139]// 000000003EF0: D3D70088 1E22B160
	s_add_u32 s60, 0x180, s80                                  // 000000003EF8: 803C50FF 00000180
	s_cmp_lt_u32 s60, s81                                      // 000000003F00: BF0A513C
	s_cselect_b32 s57, s57, 0                                  // 000000003F04: 85398039
	v_mfma_i32_16x16x32_i8 v[136:139], a[98:99], a[90:91], v[136:139]// 000000003F08: D3D70088 1E22B562
	s_add_u32 s60, 0x100, s80                                  // 000000003F10: 803C50FF 00000100
	s_cmp_lt_u32 s60, s81                                      // 000000003F18: BF0A513C
	s_cselect_b32 s58, s58, 0                                  // 000000003F1C: 853A803A
	v_mfma_i32_16x16x32_i8 v[136:139], a[100:101], a[92:93], v[136:139]// 000000003F20: D3D70088 1E22B964
	s_add_u32 s60, 0x100, s80                                  // 000000003F28: 803C50FF 00000100
	s_cmp_lt_u32 s60, s81                                      // 000000003F30: BF0A513C
	s_cselect_b32 s83, s83, 0                                  // 000000003F34: 85538053
	v_mfma_i32_16x16x32_i8 v[136:139], a[102:103], a[94:95], v[136:139]// 000000003F38: D3D70088 1E22BD66
	s_add_u32 s24, s58, s24                                    // 000000003F40: 8018183A
	s_addc_u32 s25, 0, s25                                     // 000000003F44: 82191980
	v_mfma_i32_16x16x32_i8 v[160:163], a[104:105], a[88:89], v[160:163]// 000000003F48: D3D700A0 1E82B168
	s_add_u32 s20, s57, s20                                    // 000000003F50: 80141439
	s_addc_u32 s21, 0, s21                                     // 000000003F54: 82151580
	v_mfma_i32_16x16x32_i8 v[160:163], a[106:107], a[90:91], v[160:163]// 000000003F58: D3D700A0 1E82B56A
	s_add_u32 s84, s83, s84                                    // 000000003F60: 80545453
	s_addc_u32 s85, 0, s85                                     // 000000003F64: 82555580
	v_mfma_i32_16x16x32_i8 v[160:163], a[108:109], a[92:93], v[160:163]// 000000003F68: D3D700A0 1E82B96C
	v_mfma_i32_16x16x32_i8 v[160:163], a[110:111], a[94:95], v[160:163]// 000000003F70: D3D700A0 1E82BD6E
	s_addk_i32 s80, 0x80                                       // 000000003F78: B7500080
	s_cmp_lt_i32 s80, s81                                      // 000000003F7C: BF045150
	s_cbranch_scc0 label_0A1E                                  // 000000003F80: BF8404BD
	s_waitcnt vmcnt(16) lgkmcnt(0)                             // 000000003F84: BF8C4070
	v_mfma_i32_16x16x32_i8 v[68:71], a[112:113], a[0:1], v[68:71]// 000000003F88: D3D70044 1D120170
	v_mfma_i32_16x16x32_i8 v[68:71], a[114:115], a[2:3], v[68:71]// 000000003F90: D3D70044 1D120572
	buffer_load_dwordx4 a[96:99], v66, s[24:27], 0 offen       // 000000003F98: E05C1000 80866042
	v_mfma_i32_16x16x32_i8 v[68:71], a[116:117], a[4:5], v[68:71]// 000000003FA0: D3D70044 1D120974
	v_mfma_i32_16x16x32_i8 v[68:71], a[118:119], a[6:7], v[68:71]// 000000003FA8: D3D70044 1D120D76
	v_mfma_i32_16x16x32_i8 v[92:95], a[120:121], a[0:1], v[92:95]// 000000003FB0: D3D7005C 1D720178
	v_mfma_i32_16x16x32_i8 v[92:95], a[122:123], a[2:3], v[92:95]// 000000003FB8: D3D7005C 1D72057A
	buffer_load_dwordx4 a[100:103], v66, s[24:27], 0 offen offset:1024// 000000003FC0: E05C1400 80866442
	v_mfma_i32_16x16x32_i8 v[92:95], a[124:125], a[4:5], v[92:95]// 000000003FC8: D3D7005C 1D72097C
	v_mfma_i32_16x16x32_i8 v[92:95], a[126:127], a[6:7], v[92:95]// 000000003FD0: D3D7005C 1D720D7E
	v_mfma_i32_16x16x32_i8 v[72:75], a[112:113], a[8:9], v[72:75]// 000000003FD8: D3D70048 1D221170
	v_mfma_i32_16x16x32_i8 v[72:75], a[114:115], a[10:11], v[72:75]// 000000003FE0: D3D70048 1D221572
	buffer_load_dwordx4 a[104:107], v67, s[24:27], 0 offen     // 000000003FE8: E05C1000 80866843
	v_mfma_i32_16x16x32_i8 v[72:75], a[116:117], a[12:13], v[72:75]// 000000003FF0: D3D70048 1D221974
	v_mfma_i32_16x16x32_i8 v[72:75], a[118:119], a[14:15], v[72:75]// 000000003FF8: D3D70048 1D221D76
	v_mfma_i32_16x16x32_i8 v[96:99], a[120:121], a[8:9], v[96:99]// 000000004000: D3D70060 1D821178
	v_mfma_i32_16x16x32_i8 v[96:99], a[122:123], a[10:11], v[96:99]// 000000004008: D3D70060 1D82157A
	buffer_load_dwordx4 a[108:111], v67, s[24:27], 0 offen offset:1024// 000000004010: E05C1400 80866C43
	buffer_load_dword v54, s[20:23], 0 offen lds               // 000000004018: E0511000 80050036
	s_add_u32 m0, 0x100, s49                                   // 000000004020: 807C31FF 00000100
	v_mfma_i32_16x16x32_i8 v[96:99], a[124:125], a[12:13], v[96:99]// 000000004028: D3D70060 1D82197C
	v_mfma_i32_16x16x32_i8 v[96:99], a[126:127], a[14:15], v[96:99]// 000000004030: D3D70060 1D821D7E
	buffer_load_dword v55, s[20:23], 0 offen lds               // 000000004038: E0511000 80050037
	s_add_u32 m0, 0x200, s49                                   // 000000004040: 807C31FF 00000200
	v_mfma_i32_16x16x32_i8 v[76:79], a[112:113], a[16:17], v[76:79]// 000000004048: D3D7004C 1D322170
	v_mfma_i32_16x16x32_i8 v[76:79], a[114:115], a[18:19], v[76:79]// 000000004050: D3D7004C 1D322572
	buffer_load_dword v56, s[20:23], 0 offen lds               // 000000004058: E0511000 80050038
	s_add_u32 m0, 0x300, s49                                   // 000000004060: 807C31FF 00000300
	v_mfma_i32_16x16x32_i8 v[76:79], a[116:117], a[20:21], v[76:79]// 000000004068: D3D7004C 1D322974
	v_mfma_i32_16x16x32_i8 v[76:79], a[118:119], a[22:23], v[76:79]// 000000004070: D3D7004C 1D322D76
	buffer_load_dword v57, s[20:23], 0 offen lds               // 000000004078: E0511000 80050039
	s_add_u32 m0, 0x400, s49                                   // 000000004080: 807C31FF 00000400
	v_mfma_i32_16x16x32_i8 v[100:103], a[120:121], a[16:17], v[100:103]// 000000004088: D3D70064 1D922178
	v_mfma_i32_16x16x32_i8 v[100:103], a[122:123], a[18:19], v[100:103]// 000000004090: D3D70064 1D92257A
	buffer_load_dword v58, s[20:23], 0 offen lds               // 000000004098: E0511000 8005003A
	s_add_u32 m0, 0x500, s49                                   // 0000000040A0: 807C31FF 00000500
	v_mfma_i32_16x16x32_i8 v[100:103], a[124:125], a[20:21], v[100:103]// 0000000040A8: D3D70064 1D92297C
	v_mfma_i32_16x16x32_i8 v[100:103], a[126:127], a[22:23], v[100:103]// 0000000040B0: D3D70064 1D922D7E
	buffer_load_dword v59, s[20:23], 0 offen lds               // 0000000040B8: E0511000 8005003B
	s_add_u32 m0, 0x600, s49                                   // 0000000040C0: 807C31FF 00000600
	v_mfma_i32_16x16x32_i8 v[80:83], a[112:113], a[24:25], v[80:83]// 0000000040C8: D3D70050 1D423170
	v_mfma_i32_16x16x32_i8 v[80:83], a[114:115], a[26:27], v[80:83]// 0000000040D0: D3D70050 1D423572
	buffer_load_dword v60, s[20:23], 0 offen lds               // 0000000040D8: E0511000 8005003C
	s_add_u32 m0, 0x700, s49                                   // 0000000040E0: 807C31FF 00000700
	v_mfma_i32_16x16x32_i8 v[80:83], a[116:117], a[28:29], v[80:83]// 0000000040E8: D3D70050 1D423974
	v_mfma_i32_16x16x32_i8 v[80:83], a[118:119], a[30:31], v[80:83]// 0000000040F0: D3D70050 1D423D76
	buffer_load_dword v61, s[20:23], 0 offen lds               // 0000000040F8: E0511000 8005003D
	s_add_u32 m0, 0x800, s49                                   // 000000004100: 807C31FF 00000800
	v_mfma_i32_16x16x32_i8 v[104:107], a[120:121], a[24:25], v[104:107]// 000000004108: D3D70068 1DA23178
	v_mfma_i32_16x16x32_i8 v[104:107], a[122:123], a[26:27], v[104:107]// 000000004110: D3D70068 1DA2357A
	buffer_load_dword v62, s[20:23], 0 offen lds               // 000000004118: E0511000 8005003E
	s_add_u32 m0, 0x900, s49                                   // 000000004120: 807C31FF 00000900
	v_mfma_i32_16x16x32_i8 v[104:107], a[124:125], a[28:29], v[104:107]// 000000004128: D3D70068 1DA2397C
	v_mfma_i32_16x16x32_i8 v[104:107], a[126:127], a[30:31], v[104:107]// 000000004130: D3D70068 1DA23D7E
	buffer_load_dword v63, s[20:23], 0 offen lds               // 000000004138: E0511000 8005003F
	s_add_u32 m0, 0xa00, s49                                   // 000000004140: 807C31FF 00000A00
	v_mfma_i32_16x16x32_i8 v[84:87], a[112:113], a[32:33], v[84:87]// 000000004148: D3D70054 1D524170
	v_mfma_i32_16x16x32_i8 v[84:87], a[114:115], a[34:35], v[84:87]// 000000004150: D3D70054 1D524572
	buffer_load_dword v64, s[20:23], 0 offen lds               // 000000004158: E0511000 80050040
	s_add_u32 m0, 0xb00, s49                                   // 000000004160: 807C31FF 00000B00
	v_mfma_i32_16x16x32_i8 v[84:87], a[116:117], a[36:37], v[84:87]// 000000004168: D3D70054 1D524974
	v_mfma_i32_16x16x32_i8 v[84:87], a[118:119], a[38:39], v[84:87]// 000000004170: D3D70054 1D524D76
	buffer_load_dword v65, s[20:23], 0 offen lds               // 000000004178: E0511000 80050041
	s_add_u32 m0, 0, s50                                       // 000000004180: 807C3280
	v_mfma_i32_16x16x32_i8 v[108:111], a[120:121], a[32:33], v[108:111]// 000000004184: D3D7006C 1DB24178
	v_mfma_i32_16x16x32_i8 v[108:111], a[122:123], a[34:35], v[108:111]// 00000000418C: D3D7006C 1DB2457A
	v_mfma_i32_16x16x32_i8 v[108:111], a[124:125], a[36:37], v[108:111]// 000000004194: D3D7006C 1DB2497C
	v_mfma_i32_16x16x32_i8 v[108:111], a[126:127], a[38:39], v[108:111]// 00000000419C: D3D7006C 1DB24D7E
	v_mfma_i32_16x16x32_i8 v[88:91], a[112:113], a[40:41], v[88:91]// 0000000041A4: D3D70058 1D625170
	v_mfma_i32_16x16x32_i8 v[88:91], a[114:115], a[42:43], v[88:91]// 0000000041AC: D3D70058 1D625572
	v_mfma_i32_16x16x32_i8 v[88:91], a[116:117], a[44:45], v[88:91]// 0000000041B4: D3D70058 1D625974
	v_mfma_i32_16x16x32_i8 v[88:91], a[118:119], a[46:47], v[88:91]// 0000000041BC: D3D70058 1D625D76
	v_mfma_i32_16x16x32_i8 v[112:115], a[120:121], a[40:41], v[112:115]// 0000000041C4: D3D70070 1DC25178
	v_mfma_i32_16x16x32_i8 v[112:115], a[122:123], a[42:43], v[112:115]// 0000000041CC: D3D70070 1DC2557A
	v_mfma_i32_16x16x32_i8 v[112:115], a[124:125], a[44:45], v[112:115]// 0000000041D4: D3D70070 1DC2597C
	v_mfma_i32_16x16x32_i8 v[112:115], a[126:127], a[46:47], v[112:115]// 0000000041DC: D3D70070 1DC25D7E
	s_waitcnt vmcnt(16)                                        // 0000000041E4: BF8C4F70
	s_barrier                                                  // 0000000041E8: BF8A0000
	v_mfma_i32_16x16x32_i8 v[116:119], a[128:129], a[0:1], v[116:119]// 0000000041EC: D3D70074 1DD20180
	v_mfma_i32_16x16x32_i8 v[116:119], a[130:131], a[2:3], v[116:119]// 0000000041F4: D3D70074 1DD20582
	buffer_load_dwordx4 a[112:115], v66, s[84:87], 0 offen     // 0000000041FC: E05C1000 80957042
	v_mfma_i32_16x16x32_i8 v[116:119], a[132:133], a[4:5], v[116:119]// 000000004204: D3D70074 1DD20984
	v_mfma_i32_16x16x32_i8 v[116:119], a[134:135], a[6:7], v[116:119]// 00000000420C: D3D70074 1DD20D86
	ds_read_b128 a[48:51], v2                                  // 000000004214: DBFE0000 30000002
	ds_read_b128 a[52:55], v2 offset:64                        // 00000000421C: DBFE0040 34000002
	v_mfma_i32_16x16x32_i8 v[140:143], a[136:137], a[0:1], v[140:143]// 000000004224: D3D7008C 1E320188
	v_mfma_i32_16x16x32_i8 v[140:143], a[138:139], a[2:3], v[140:143]// 00000000422C: D3D7008C 1E32058A
	buffer_load_dwordx4 a[116:119], v66, s[84:87], 0 offen offset:1024// 000000004234: E05C1400 80957442
	v_mfma_i32_16x16x32_i8 v[140:143], a[140:141], a[4:5], v[140:143]// 00000000423C: D3D7008C 1E32098C
	v_mfma_i32_16x16x32_i8 v[140:143], a[142:143], a[6:7], v[140:143]// 000000004244: D3D7008C 1E320D8E
	ds_read_b128 a[56:59], v2 offset:512                       // 00000000424C: DBFE0200 38000002
	ds_read_b128 a[60:63], v2 offset:576                       // 000000004254: DBFE0240 3C000002
	v_mfma_i32_16x16x32_i8 v[120:123], a[128:129], a[8:9], v[120:123]// 00000000425C: D3D70078 1DE21180
	v_mfma_i32_16x16x32_i8 v[120:123], a[130:131], a[10:11], v[120:123]// 000000004264: D3D70078 1DE21582
	buffer_load_dwordx4 a[120:123], v67, s[84:87], 0 offen     // 00000000426C: E05C1000 80957843
	v_mfma_i32_16x16x32_i8 v[120:123], a[132:133], a[12:13], v[120:123]// 000000004274: D3D70078 1DE21984
	v_mfma_i32_16x16x32_i8 v[120:123], a[134:135], a[14:15], v[120:123]// 00000000427C: D3D70078 1DE21D86
	ds_read_b128 a[64:67], v2 offset:1024                      // 000000004284: DBFE0400 40000002
	ds_read_b128 a[68:71], v2 offset:1088                      // 00000000428C: DBFE0440 44000002
	v_mfma_i32_16x16x32_i8 v[144:147], a[136:137], a[8:9], v[144:147]// 000000004294: D3D70090 1E421188
	v_mfma_i32_16x16x32_i8 v[144:147], a[138:139], a[10:11], v[144:147]// 00000000429C: D3D70090 1E42158A
	buffer_load_dwordx4 a[124:127], v67, s[84:87], 0 offen offset:1024// 0000000042A4: E05C1400 80957C43
	v_mfma_i32_16x16x32_i8 v[144:147], a[140:141], a[12:13], v[144:147]// 0000000042AC: D3D70090 1E42198C
	v_mfma_i32_16x16x32_i8 v[144:147], a[142:143], a[14:15], v[144:147]// 0000000042B4: D3D70090 1E421D8E
	ds_read_b128 a[72:75], v2 offset:1536                      // 0000000042BC: DBFE0600 48000002
	ds_read_b128 a[76:79], v2 offset:1600                      // 0000000042C4: DBFE0640 4C000002
	v_mfma_i32_16x16x32_i8 v[124:127], a[128:129], a[16:17], v[124:127]// 0000000042CC: D3D7007C 1DF22180
	v_mfma_i32_16x16x32_i8 v[124:127], a[130:131], a[18:19], v[124:127]// 0000000042D4: D3D7007C 1DF22582
	v_mfma_i32_16x16x32_i8 v[124:127], a[132:133], a[20:21], v[124:127]// 0000000042DC: D3D7007C 1DF22984
	v_mfma_i32_16x16x32_i8 v[124:127], a[134:135], a[22:23], v[124:127]// 0000000042E4: D3D7007C 1DF22D86
	ds_read_b128 a[80:83], v2 offset:2048                      // 0000000042EC: DBFE0800 50000002
	ds_read_b128 a[84:87], v2 offset:2112                      // 0000000042F4: DBFE0840 54000002
	v_mfma_i32_16x16x32_i8 v[148:151], a[136:137], a[16:17], v[148:151]// 0000000042FC: D3D70094 1E522188
	v_mfma_i32_16x16x32_i8 v[148:151], a[138:139], a[18:19], v[148:151]// 000000004304: D3D70094 1E52258A
	v_mfma_i32_16x16x32_i8 v[148:151], a[140:141], a[20:21], v[148:151]// 00000000430C: D3D70094 1E52298C
	v_mfma_i32_16x16x32_i8 v[148:151], a[142:143], a[22:23], v[148:151]// 000000004314: D3D70094 1E522D8E
	ds_read_b128 a[88:91], v2 offset:2560                      // 00000000431C: DBFE0A00 58000002
	ds_read_b128 a[92:95], v2 offset:2624                      // 000000004324: DBFE0A40 5C000002
	v_mfma_i32_16x16x32_i8 v[128:131], a[128:129], a[24:25], v[128:131]// 00000000432C: D3D70080 1E023180
	v_mfma_i32_16x16x32_i8 v[128:131], a[130:131], a[26:27], v[128:131]// 000000004334: D3D70080 1E023582
	v_mfma_i32_16x16x32_i8 v[128:131], a[132:133], a[28:29], v[128:131]// 00000000433C: D3D70080 1E023984
	v_mfma_i32_16x16x32_i8 v[128:131], a[134:135], a[30:31], v[128:131]// 000000004344: D3D70080 1E023D86
	v_mfma_i32_16x16x32_i8 v[152:155], a[136:137], a[24:25], v[152:155]// 00000000434C: D3D70098 1E623188
	v_mfma_i32_16x16x32_i8 v[152:155], a[138:139], a[26:27], v[152:155]// 000000004354: D3D70098 1E62358A
	v_mfma_i32_16x16x32_i8 v[152:155], a[140:141], a[28:29], v[152:155]// 00000000435C: D3D70098 1E62398C
	v_mfma_i32_16x16x32_i8 v[152:155], a[142:143], a[30:31], v[152:155]// 000000004364: D3D70098 1E623D8E
	v_mfma_i32_16x16x32_i8 v[132:135], a[128:129], a[32:33], v[132:135]// 00000000436C: D3D70084 1E124180
	v_mfma_i32_16x16x32_i8 v[132:135], a[130:131], a[34:35], v[132:135]// 000000004374: D3D70084 1E124582
	v_mfma_i32_16x16x32_i8 v[132:135], a[132:133], a[36:37], v[132:135]// 00000000437C: D3D70084 1E124984
	v_mfma_i32_16x16x32_i8 v[132:135], a[134:135], a[38:39], v[132:135]// 000000004384: D3D70084 1E124D86
	v_mfma_i32_16x16x32_i8 v[156:159], a[136:137], a[32:33], v[156:159]// 00000000438C: D3D7009C 1E724188
	v_mfma_i32_16x16x32_i8 v[156:159], a[138:139], a[34:35], v[156:159]// 000000004394: D3D7009C 1E72458A
	v_mfma_i32_16x16x32_i8 v[156:159], a[140:141], a[36:37], v[156:159]// 00000000439C: D3D7009C 1E72498C
	v_mfma_i32_16x16x32_i8 v[156:159], a[142:143], a[38:39], v[156:159]// 0000000043A4: D3D7009C 1E724D8E
	v_mfma_i32_16x16x32_i8 v[136:139], a[128:129], a[40:41], v[136:139]// 0000000043AC: D3D70088 1E225180
	s_add_u32 s60, 0x180, s80                                  // 0000000043B4: 803C50FF 00000180
	s_cmp_lt_u32 s60, s81                                      // 0000000043BC: BF0A513C
	s_cselect_b32 s57, s57, 0                                  // 0000000043C0: 85398039
	v_mfma_i32_16x16x32_i8 v[136:139], a[130:131], a[42:43], v[136:139]// 0000000043C4: D3D70088 1E225582
	s_add_u32 s60, 0x100, s80                                  // 0000000043CC: 803C50FF 00000100
	s_cmp_lt_u32 s60, s81                                      // 0000000043D4: BF0A513C
	s_cselect_b32 s58, s58, 0                                  // 0000000043D8: 853A803A
	v_mfma_i32_16x16x32_i8 v[136:139], a[132:133], a[44:45], v[136:139]// 0000000043DC: D3D70088 1E225984
	s_add_u32 s60, 0x100, s80                                  // 0000000043E4: 803C50FF 00000100
	s_cmp_lt_u32 s60, s81                                      // 0000000043EC: BF0A513C
	s_cselect_b32 s83, s83, 0                                  // 0000000043F0: 85538053
	v_mfma_i32_16x16x32_i8 v[136:139], a[134:135], a[46:47], v[136:139]// 0000000043F4: D3D70088 1E225D86
	s_add_u32 s24, s58, s24                                    // 0000000043FC: 8018183A
	s_addc_u32 s25, 0, s25                                     // 000000004400: 82191980
	v_mfma_i32_16x16x32_i8 v[160:163], a[136:137], a[40:41], v[160:163]// 000000004404: D3D700A0 1E825188
	s_add_u32 s20, s57, s20                                    // 00000000440C: 80141439
	s_addc_u32 s21, 0, s21                                     // 000000004410: 82151580
	v_mfma_i32_16x16x32_i8 v[160:163], a[138:139], a[42:43], v[160:163]// 000000004414: D3D700A0 1E82558A
	s_add_u32 s84, s83, s84                                    // 00000000441C: 80545453
	s_addc_u32 s85, 0, s85                                     // 000000004420: 82555580
	v_mfma_i32_16x16x32_i8 v[160:163], a[140:141], a[44:45], v[160:163]// 000000004424: D3D700A0 1E82598C
	v_mfma_i32_16x16x32_i8 v[160:163], a[142:143], a[46:47], v[160:163]// 00000000442C: D3D700A0 1E825D8E
	s_addk_i32 s80, 0x80                                       // 000000004434: B7500080
	s_cmp_lt_i32 s80, s81                                      // 000000004438: BF045150
	s_cbranch_scc0 label_0A1E                                  // 00000000443C: BF84038E
	s_waitcnt vmcnt(16) lgkmcnt(0)                             // 000000004440: BF8C4070
	v_mfma_i32_16x16x32_i8 v[68:71], a[96:97], a[48:49], v[68:71]// 000000004444: D3D70044 1D126160
	v_mfma_i32_16x16x32_i8 v[68:71], a[98:99], a[50:51], v[68:71]// 00000000444C: D3D70044 1D126562
	buffer_load_dwordx4 a[128:131], v66, s[24:27], 0 offen     // 000000004454: E05C1000 80868042
	v_mfma_i32_16x16x32_i8 v[68:71], a[100:101], a[52:53], v[68:71]// 00000000445C: D3D70044 1D126964
	v_mfma_i32_16x16x32_i8 v[68:71], a[102:103], a[54:55], v[68:71]// 000000004464: D3D70044 1D126D66
	v_mfma_i32_16x16x32_i8 v[92:95], a[104:105], a[48:49], v[92:95]// 00000000446C: D3D7005C 1D726168
	v_mfma_i32_16x16x32_i8 v[92:95], a[106:107], a[50:51], v[92:95]// 000000004474: D3D7005C 1D72656A
	buffer_load_dwordx4 a[132:135], v66, s[24:27], 0 offen offset:1024// 00000000447C: E05C1400 80868442
	v_mfma_i32_16x16x32_i8 v[92:95], a[108:109], a[52:53], v[92:95]// 000000004484: D3D7005C 1D72696C
	v_mfma_i32_16x16x32_i8 v[92:95], a[110:111], a[54:55], v[92:95]// 00000000448C: D3D7005C 1D726D6E
	v_mfma_i32_16x16x32_i8 v[72:75], a[96:97], a[56:57], v[72:75]// 000000004494: D3D70048 1D227160
	v_mfma_i32_16x16x32_i8 v[72:75], a[98:99], a[58:59], v[72:75]// 00000000449C: D3D70048 1D227562
	buffer_load_dwordx4 a[136:139], v67, s[24:27], 0 offen     // 0000000044A4: E05C1000 80868843
	v_mfma_i32_16x16x32_i8 v[72:75], a[100:101], a[60:61], v[72:75]// 0000000044AC: D3D70048 1D227964
	v_mfma_i32_16x16x32_i8 v[72:75], a[102:103], a[62:63], v[72:75]// 0000000044B4: D3D70048 1D227D66
	v_mfma_i32_16x16x32_i8 v[96:99], a[104:105], a[56:57], v[96:99]// 0000000044BC: D3D70060 1D827168
	v_mfma_i32_16x16x32_i8 v[96:99], a[106:107], a[58:59], v[96:99]// 0000000044C4: D3D70060 1D82756A
	buffer_load_dwordx4 a[140:143], v67, s[24:27], 0 offen offset:1024// 0000000044CC: E05C1400 80868C43
	buffer_load_dword v54, s[20:23], 0 offen lds               // 0000000044D4: E0511000 80050036
	s_add_u32 m0, 0x100, s50                                   // 0000000044DC: 807C32FF 00000100
	v_mfma_i32_16x16x32_i8 v[96:99], a[108:109], a[60:61], v[96:99]// 0000000044E4: D3D70060 1D82796C
	v_mfma_i32_16x16x32_i8 v[96:99], a[110:111], a[62:63], v[96:99]// 0000000044EC: D3D70060 1D827D6E
	buffer_load_dword v55, s[20:23], 0 offen lds               // 0000000044F4: E0511000 80050037
	s_add_u32 m0, 0x200, s50                                   // 0000000044FC: 807C32FF 00000200
	v_mfma_i32_16x16x32_i8 v[76:79], a[96:97], a[64:65], v[76:79]// 000000004504: D3D7004C 1D328160
	v_mfma_i32_16x16x32_i8 v[76:79], a[98:99], a[66:67], v[76:79]// 00000000450C: D3D7004C 1D328562
	buffer_load_dword v56, s[20:23], 0 offen lds               // 000000004514: E0511000 80050038
	s_add_u32 m0, 0x300, s50                                   // 00000000451C: 807C32FF 00000300
	v_mfma_i32_16x16x32_i8 v[76:79], a[100:101], a[68:69], v[76:79]// 000000004524: D3D7004C 1D328964
	v_mfma_i32_16x16x32_i8 v[76:79], a[102:103], a[70:71], v[76:79]// 00000000452C: D3D7004C 1D328D66
	buffer_load_dword v57, s[20:23], 0 offen lds               // 000000004534: E0511000 80050039
	s_add_u32 m0, 0x400, s50                                   // 00000000453C: 807C32FF 00000400
	v_mfma_i32_16x16x32_i8 v[100:103], a[104:105], a[64:65], v[100:103]// 000000004544: D3D70064 1D928168
	v_mfma_i32_16x16x32_i8 v[100:103], a[106:107], a[66:67], v[100:103]// 00000000454C: D3D70064 1D92856A
	buffer_load_dword v58, s[20:23], 0 offen lds               // 000000004554: E0511000 8005003A
	s_add_u32 m0, 0x500, s50                                   // 00000000455C: 807C32FF 00000500
	v_mfma_i32_16x16x32_i8 v[100:103], a[108:109], a[68:69], v[100:103]// 000000004564: D3D70064 1D92896C
	v_mfma_i32_16x16x32_i8 v[100:103], a[110:111], a[70:71], v[100:103]// 00000000456C: D3D70064 1D928D6E
	buffer_load_dword v59, s[20:23], 0 offen lds               // 000000004574: E0511000 8005003B
	s_add_u32 m0, 0x600, s50                                   // 00000000457C: 807C32FF 00000600
	v_mfma_i32_16x16x32_i8 v[80:83], a[96:97], a[72:73], v[80:83]// 000000004584: D3D70050 1D429160
	v_mfma_i32_16x16x32_i8 v[80:83], a[98:99], a[74:75], v[80:83]// 00000000458C: D3D70050 1D429562
	buffer_load_dword v60, s[20:23], 0 offen lds               // 000000004594: E0511000 8005003C
	s_add_u32 m0, 0x700, s50                                   // 00000000459C: 807C32FF 00000700
	v_mfma_i32_16x16x32_i8 v[80:83], a[100:101], a[76:77], v[80:83]// 0000000045A4: D3D70050 1D429964
	v_mfma_i32_16x16x32_i8 v[80:83], a[102:103], a[78:79], v[80:83]// 0000000045AC: D3D70050 1D429D66
	buffer_load_dword v61, s[20:23], 0 offen lds               // 0000000045B4: E0511000 8005003D
	s_add_u32 m0, 0x800, s50                                   // 0000000045BC: 807C32FF 00000800
	v_mfma_i32_16x16x32_i8 v[104:107], a[104:105], a[72:73], v[104:107]// 0000000045C4: D3D70068 1DA29168
	v_mfma_i32_16x16x32_i8 v[104:107], a[106:107], a[74:75], v[104:107]// 0000000045CC: D3D70068 1DA2956A
	buffer_load_dword v62, s[20:23], 0 offen lds               // 0000000045D4: E0511000 8005003E
	s_add_u32 m0, 0x900, s50                                   // 0000000045DC: 807C32FF 00000900
	v_mfma_i32_16x16x32_i8 v[104:107], a[108:109], a[76:77], v[104:107]// 0000000045E4: D3D70068 1DA2996C
	v_mfma_i32_16x16x32_i8 v[104:107], a[110:111], a[78:79], v[104:107]// 0000000045EC: D3D70068 1DA29D6E
	buffer_load_dword v63, s[20:23], 0 offen lds               // 0000000045F4: E0511000 8005003F
	s_add_u32 m0, 0xa00, s50                                   // 0000000045FC: 807C32FF 00000A00
	v_mfma_i32_16x16x32_i8 v[84:87], a[96:97], a[80:81], v[84:87]// 000000004604: D3D70054 1D52A160
	v_mfma_i32_16x16x32_i8 v[84:87], a[98:99], a[82:83], v[84:87]// 00000000460C: D3D70054 1D52A562
	buffer_load_dword v64, s[20:23], 0 offen lds               // 000000004614: E0511000 80050040
	s_add_u32 m0, 0xb00, s50                                   // 00000000461C: 807C32FF 00000B00
	v_mfma_i32_16x16x32_i8 v[84:87], a[100:101], a[84:85], v[84:87]// 000000004624: D3D70054 1D52A964
	v_mfma_i32_16x16x32_i8 v[84:87], a[102:103], a[86:87], v[84:87]// 00000000462C: D3D70054 1D52AD66
	buffer_load_dword v65, s[20:23], 0 offen lds               // 000000004634: E0511000 80050041
	s_add_u32 m0, 0, s48                                       // 00000000463C: 807C3080
	v_mfma_i32_16x16x32_i8 v[108:111], a[104:105], a[80:81], v[108:111]// 000000004640: D3D7006C 1DB2A168
	v_mfma_i32_16x16x32_i8 v[108:111], a[106:107], a[82:83], v[108:111]// 000000004648: D3D7006C 1DB2A56A
	v_mfma_i32_16x16x32_i8 v[108:111], a[108:109], a[84:85], v[108:111]// 000000004650: D3D7006C 1DB2A96C
	v_mfma_i32_16x16x32_i8 v[108:111], a[110:111], a[86:87], v[108:111]// 000000004658: D3D7006C 1DB2AD6E
	v_mfma_i32_16x16x32_i8 v[88:91], a[96:97], a[88:89], v[88:91]// 000000004660: D3D70058 1D62B160
	v_mfma_i32_16x16x32_i8 v[88:91], a[98:99], a[90:91], v[88:91]// 000000004668: D3D70058 1D62B562
	v_mfma_i32_16x16x32_i8 v[88:91], a[100:101], a[92:93], v[88:91]// 000000004670: D3D70058 1D62B964
	v_mfma_i32_16x16x32_i8 v[88:91], a[102:103], a[94:95], v[88:91]// 000000004678: D3D70058 1D62BD66
	v_mfma_i32_16x16x32_i8 v[112:115], a[104:105], a[88:89], v[112:115]// 000000004680: D3D70070 1DC2B168
	v_mfma_i32_16x16x32_i8 v[112:115], a[106:107], a[90:91], v[112:115]// 000000004688: D3D70070 1DC2B56A
	v_mfma_i32_16x16x32_i8 v[112:115], a[108:109], a[92:93], v[112:115]// 000000004690: D3D70070 1DC2B96C
	v_mfma_i32_16x16x32_i8 v[112:115], a[110:111], a[94:95], v[112:115]// 000000004698: D3D70070 1DC2BD6E
	s_waitcnt vmcnt(16)                                        // 0000000046A0: BF8C4F70
	s_barrier                                                  // 0000000046A4: BF8A0000
	v_mfma_i32_16x16x32_i8 v[116:119], a[112:113], a[48:49], v[116:119]// 0000000046A8: D3D70074 1DD26170
	v_mfma_i32_16x16x32_i8 v[116:119], a[114:115], a[50:51], v[116:119]// 0000000046B0: D3D70074 1DD26572
	buffer_load_dwordx4 a[96:99], v66, s[84:87], 0 offen       // 0000000046B8: E05C1000 80956042
	v_mfma_i32_16x16x32_i8 v[116:119], a[116:117], a[52:53], v[116:119]// 0000000046C0: D3D70074 1DD26974
	v_mfma_i32_16x16x32_i8 v[116:119], a[118:119], a[54:55], v[116:119]// 0000000046C8: D3D70074 1DD26D76
	ds_read_b128 a[0:3], v2 offset:12416                       // 0000000046D0: DBFE3080 00000002
	ds_read_b128 a[4:7], v2 offset:12480                       // 0000000046D8: DBFE30C0 04000002
	v_mfma_i32_16x16x32_i8 v[140:143], a[120:121], a[48:49], v[140:143]// 0000000046E0: D3D7008C 1E326178
	v_mfma_i32_16x16x32_i8 v[140:143], a[122:123], a[50:51], v[140:143]// 0000000046E8: D3D7008C 1E32657A
	buffer_load_dwordx4 a[100:103], v66, s[84:87], 0 offen offset:1024// 0000000046F0: E05C1400 80956442
	v_mfma_i32_16x16x32_i8 v[140:143], a[124:125], a[52:53], v[140:143]// 0000000046F8: D3D7008C 1E32697C
	v_mfma_i32_16x16x32_i8 v[140:143], a[126:127], a[54:55], v[140:143]// 000000004700: D3D7008C 1E326D7E
	ds_read_b128 a[8:11], v2 offset:12928                      // 000000004708: DBFE3280 08000002
	ds_read_b128 a[12:15], v2 offset:12992                     // 000000004710: DBFE32C0 0C000002
	v_mfma_i32_16x16x32_i8 v[120:123], a[112:113], a[56:57], v[120:123]// 000000004718: D3D70078 1DE27170
	v_mfma_i32_16x16x32_i8 v[120:123], a[114:115], a[58:59], v[120:123]// 000000004720: D3D70078 1DE27572
	buffer_load_dwordx4 a[104:107], v67, s[84:87], 0 offen     // 000000004728: E05C1000 80956843
	v_mfma_i32_16x16x32_i8 v[120:123], a[116:117], a[60:61], v[120:123]// 000000004730: D3D70078 1DE27974
	v_mfma_i32_16x16x32_i8 v[120:123], a[118:119], a[62:63], v[120:123]// 000000004738: D3D70078 1DE27D76
	ds_read_b128 a[16:19], v2 offset:13440                     // 000000004740: DBFE3480 10000002
	ds_read_b128 a[20:23], v2 offset:13504                     // 000000004748: DBFE34C0 14000002
	v_mfma_i32_16x16x32_i8 v[144:147], a[120:121], a[56:57], v[144:147]// 000000004750: D3D70090 1E427178
	v_mfma_i32_16x16x32_i8 v[144:147], a[122:123], a[58:59], v[144:147]// 000000004758: D3D70090 1E42757A
	buffer_load_dwordx4 a[108:111], v67, s[84:87], 0 offen offset:1024// 000000004760: E05C1400 80956C43
	v_mfma_i32_16x16x32_i8 v[144:147], a[124:125], a[60:61], v[144:147]// 000000004768: D3D70090 1E42797C
	v_mfma_i32_16x16x32_i8 v[144:147], a[126:127], a[62:63], v[144:147]// 000000004770: D3D70090 1E427D7E
	ds_read_b128 a[24:27], v2 offset:13952                     // 000000004778: DBFE3680 18000002
	ds_read_b128 a[28:31], v2 offset:14016                     // 000000004780: DBFE36C0 1C000002
	v_mfma_i32_16x16x32_i8 v[124:127], a[112:113], a[64:65], v[124:127]// 000000004788: D3D7007C 1DF28170
	v_mfma_i32_16x16x32_i8 v[124:127], a[114:115], a[66:67], v[124:127]// 000000004790: D3D7007C 1DF28572
	v_mfma_i32_16x16x32_i8 v[124:127], a[116:117], a[68:69], v[124:127]// 000000004798: D3D7007C 1DF28974
	v_mfma_i32_16x16x32_i8 v[124:127], a[118:119], a[70:71], v[124:127]// 0000000047A0: D3D7007C 1DF28D76
	ds_read_b128 a[32:35], v2 offset:14464                     // 0000000047A8: DBFE3880 20000002
	ds_read_b128 a[36:39], v2 offset:14528                     // 0000000047B0: DBFE38C0 24000002
	v_mfma_i32_16x16x32_i8 v[148:151], a[120:121], a[64:65], v[148:151]// 0000000047B8: D3D70094 1E528178
	v_mfma_i32_16x16x32_i8 v[148:151], a[122:123], a[66:67], v[148:151]// 0000000047C0: D3D70094 1E52857A
	v_mfma_i32_16x16x32_i8 v[148:151], a[124:125], a[68:69], v[148:151]// 0000000047C8: D3D70094 1E52897C
	v_mfma_i32_16x16x32_i8 v[148:151], a[126:127], a[70:71], v[148:151]// 0000000047D0: D3D70094 1E528D7E
	ds_read_b128 a[40:43], v2 offset:14976                     // 0000000047D8: DBFE3A80 28000002
	ds_read_b128 a[44:47], v2 offset:15040                     // 0000000047E0: DBFE3AC0 2C000002
	v_mfma_i32_16x16x32_i8 v[128:131], a[112:113], a[72:73], v[128:131]// 0000000047E8: D3D70080 1E029170
	v_mfma_i32_16x16x32_i8 v[128:131], a[114:115], a[74:75], v[128:131]// 0000000047F0: D3D70080 1E029572
	v_mfma_i32_16x16x32_i8 v[128:131], a[116:117], a[76:77], v[128:131]// 0000000047F8: D3D70080 1E029974
	v_mfma_i32_16x16x32_i8 v[128:131], a[118:119], a[78:79], v[128:131]// 000000004800: D3D70080 1E029D76
	v_mfma_i32_16x16x32_i8 v[152:155], a[120:121], a[72:73], v[152:155]// 000000004808: D3D70098 1E629178
	v_mfma_i32_16x16x32_i8 v[152:155], a[122:123], a[74:75], v[152:155]// 000000004810: D3D70098 1E62957A
	v_mfma_i32_16x16x32_i8 v[152:155], a[124:125], a[76:77], v[152:155]// 000000004818: D3D70098 1E62997C
	v_mfma_i32_16x16x32_i8 v[152:155], a[126:127], a[78:79], v[152:155]// 000000004820: D3D70098 1E629D7E
	v_mfma_i32_16x16x32_i8 v[132:135], a[112:113], a[80:81], v[132:135]// 000000004828: D3D70084 1E12A170
	v_mfma_i32_16x16x32_i8 v[132:135], a[114:115], a[82:83], v[132:135]// 000000004830: D3D70084 1E12A572
	v_mfma_i32_16x16x32_i8 v[132:135], a[116:117], a[84:85], v[132:135]// 000000004838: D3D70084 1E12A974
	v_mfma_i32_16x16x32_i8 v[132:135], a[118:119], a[86:87], v[132:135]// 000000004840: D3D70084 1E12AD76
	v_mfma_i32_16x16x32_i8 v[156:159], a[120:121], a[80:81], v[156:159]// 000000004848: D3D7009C 1E72A178
	v_mfma_i32_16x16x32_i8 v[156:159], a[122:123], a[82:83], v[156:159]// 000000004850: D3D7009C 1E72A57A
	v_mfma_i32_16x16x32_i8 v[156:159], a[124:125], a[84:85], v[156:159]// 000000004858: D3D7009C 1E72A97C
	v_mfma_i32_16x16x32_i8 v[156:159], a[126:127], a[86:87], v[156:159]// 000000004860: D3D7009C 1E72AD7E
	v_mfma_i32_16x16x32_i8 v[136:139], a[112:113], a[88:89], v[136:139]// 000000004868: D3D70088 1E22B170
	s_add_u32 s60, 0x180, s80                                  // 000000004870: 803C50FF 00000180
	s_cmp_lt_u32 s60, s81                                      // 000000004878: BF0A513C
	s_cselect_b32 s57, s57, 0                                  // 00000000487C: 85398039
	v_mfma_i32_16x16x32_i8 v[136:139], a[114:115], a[90:91], v[136:139]// 000000004880: D3D70088 1E22B572
	s_add_u32 s60, 0x100, s80                                  // 000000004888: 803C50FF 00000100
	s_cmp_lt_u32 s60, s81                                      // 000000004890: BF0A513C
	s_cselect_b32 s58, s58, 0                                  // 000000004894: 853A803A
	v_mfma_i32_16x16x32_i8 v[136:139], a[116:117], a[92:93], v[136:139]// 000000004898: D3D70088 1E22B974
	s_add_u32 s60, 0x100, s80                                  // 0000000048A0: 803C50FF 00000100
	s_cmp_lt_u32 s60, s81                                      // 0000000048A8: BF0A513C
	s_cselect_b32 s83, s83, 0                                  // 0000000048AC: 85538053
	v_mfma_i32_16x16x32_i8 v[136:139], a[118:119], a[94:95], v[136:139]// 0000000048B0: D3D70088 1E22BD76
	s_add_u32 s24, s58, s24                                    // 0000000048B8: 8018183A
	s_addc_u32 s25, 0, s25                                     // 0000000048BC: 82191980
	v_mfma_i32_16x16x32_i8 v[160:163], a[120:121], a[88:89], v[160:163]// 0000000048C0: D3D700A0 1E82B178
	s_add_u32 s20, s57, s20                                    // 0000000048C8: 80141439
	s_addc_u32 s21, 0, s21                                     // 0000000048CC: 82151580
	v_mfma_i32_16x16x32_i8 v[160:163], a[122:123], a[90:91], v[160:163]// 0000000048D0: D3D700A0 1E82B57A
	s_add_u32 s84, s83, s84                                    // 0000000048D8: 80545453
	s_addc_u32 s85, 0, s85                                     // 0000000048DC: 82555580
	v_mfma_i32_16x16x32_i8 v[160:163], a[124:125], a[92:93], v[160:163]// 0000000048E0: D3D700A0 1E82B97C
	v_mfma_i32_16x16x32_i8 v[160:163], a[126:127], a[94:95], v[160:163]// 0000000048E8: D3D700A0 1E82BD7E
	s_addk_i32 s80, 0x80                                       // 0000000048F0: B7500080
	s_cmp_lt_i32 s80, s81                                      // 0000000048F4: BF045150
	s_cbranch_scc0 label_0A1E                                  // 0000000048F8: BF84025F
	s_waitcnt vmcnt(16) lgkmcnt(0)                             // 0000000048FC: BF8C4070
	v_mfma_i32_16x16x32_i8 v[68:71], a[128:129], a[0:1], v[68:71]// 000000004900: D3D70044 1D120180
	v_mfma_i32_16x16x32_i8 v[68:71], a[130:131], a[2:3], v[68:71]// 000000004908: D3D70044 1D120582
	buffer_load_dwordx4 a[112:115], v66, s[24:27], 0 offen     // 000000004910: E05C1000 80867042
	v_mfma_i32_16x16x32_i8 v[68:71], a[132:133], a[4:5], v[68:71]// 000000004918: D3D70044 1D120984
	v_mfma_i32_16x16x32_i8 v[68:71], a[134:135], a[6:7], v[68:71]// 000000004920: D3D70044 1D120D86
	v_mfma_i32_16x16x32_i8 v[92:95], a[136:137], a[0:1], v[92:95]// 000000004928: D3D7005C 1D720188
	v_mfma_i32_16x16x32_i8 v[92:95], a[138:139], a[2:3], v[92:95]// 000000004930: D3D7005C 1D72058A
	buffer_load_dwordx4 a[116:119], v66, s[24:27], 0 offen offset:1024// 000000004938: E05C1400 80867442
	v_mfma_i32_16x16x32_i8 v[92:95], a[140:141], a[4:5], v[92:95]// 000000004940: D3D7005C 1D72098C
	v_mfma_i32_16x16x32_i8 v[92:95], a[142:143], a[6:7], v[92:95]// 000000004948: D3D7005C 1D720D8E
	v_mfma_i32_16x16x32_i8 v[72:75], a[128:129], a[8:9], v[72:75]// 000000004950: D3D70048 1D221180
	v_mfma_i32_16x16x32_i8 v[72:75], a[130:131], a[10:11], v[72:75]// 000000004958: D3D70048 1D221582
	buffer_load_dwordx4 a[120:123], v67, s[24:27], 0 offen     // 000000004960: E05C1000 80867843
	v_mfma_i32_16x16x32_i8 v[72:75], a[132:133], a[12:13], v[72:75]// 000000004968: D3D70048 1D221984
	v_mfma_i32_16x16x32_i8 v[72:75], a[134:135], a[14:15], v[72:75]// 000000004970: D3D70048 1D221D86
	v_mfma_i32_16x16x32_i8 v[96:99], a[136:137], a[8:9], v[96:99]// 000000004978: D3D70060 1D821188
	v_mfma_i32_16x16x32_i8 v[96:99], a[138:139], a[10:11], v[96:99]// 000000004980: D3D70060 1D82158A
	buffer_load_dwordx4 a[124:127], v67, s[24:27], 0 offen offset:1024// 000000004988: E05C1400 80867C43
	buffer_load_dword v54, s[20:23], 0 offen lds               // 000000004990: E0511000 80050036
	s_add_u32 m0, 0x100, s48                                   // 000000004998: 807C30FF 00000100
	v_mfma_i32_16x16x32_i8 v[96:99], a[140:141], a[12:13], v[96:99]// 0000000049A0: D3D70060 1D82198C
	v_mfma_i32_16x16x32_i8 v[96:99], a[142:143], a[14:15], v[96:99]// 0000000049A8: D3D70060 1D821D8E
	buffer_load_dword v55, s[20:23], 0 offen lds               // 0000000049B0: E0511000 80050037
	s_add_u32 m0, 0x200, s48                                   // 0000000049B8: 807C30FF 00000200
	v_mfma_i32_16x16x32_i8 v[76:79], a[128:129], a[16:17], v[76:79]// 0000000049C0: D3D7004C 1D322180
	v_mfma_i32_16x16x32_i8 v[76:79], a[130:131], a[18:19], v[76:79]// 0000000049C8: D3D7004C 1D322582
	buffer_load_dword v56, s[20:23], 0 offen lds               // 0000000049D0: E0511000 80050038
	s_add_u32 m0, 0x300, s48                                   // 0000000049D8: 807C30FF 00000300
	v_mfma_i32_16x16x32_i8 v[76:79], a[132:133], a[20:21], v[76:79]// 0000000049E0: D3D7004C 1D322984
	v_mfma_i32_16x16x32_i8 v[76:79], a[134:135], a[22:23], v[76:79]// 0000000049E8: D3D7004C 1D322D86
	buffer_load_dword v57, s[20:23], 0 offen lds               // 0000000049F0: E0511000 80050039
	s_add_u32 m0, 0x400, s48                                   // 0000000049F8: 807C30FF 00000400
	v_mfma_i32_16x16x32_i8 v[100:103], a[136:137], a[16:17], v[100:103]// 000000004A00: D3D70064 1D922188
	v_mfma_i32_16x16x32_i8 v[100:103], a[138:139], a[18:19], v[100:103]// 000000004A08: D3D70064 1D92258A
	buffer_load_dword v58, s[20:23], 0 offen lds               // 000000004A10: E0511000 8005003A
	s_add_u32 m0, 0x500, s48                                   // 000000004A18: 807C30FF 00000500
	v_mfma_i32_16x16x32_i8 v[100:103], a[140:141], a[20:21], v[100:103]// 000000004A20: D3D70064 1D92298C
	v_mfma_i32_16x16x32_i8 v[100:103], a[142:143], a[22:23], v[100:103]// 000000004A28: D3D70064 1D922D8E
	buffer_load_dword v59, s[20:23], 0 offen lds               // 000000004A30: E0511000 8005003B
	s_add_u32 m0, 0x600, s48                                   // 000000004A38: 807C30FF 00000600
	v_mfma_i32_16x16x32_i8 v[80:83], a[128:129], a[24:25], v[80:83]// 000000004A40: D3D70050 1D423180
	v_mfma_i32_16x16x32_i8 v[80:83], a[130:131], a[26:27], v[80:83]// 000000004A48: D3D70050 1D423582
	buffer_load_dword v60, s[20:23], 0 offen lds               // 000000004A50: E0511000 8005003C
	s_add_u32 m0, 0x700, s48                                   // 000000004A58: 807C30FF 00000700
	v_mfma_i32_16x16x32_i8 v[80:83], a[132:133], a[28:29], v[80:83]// 000000004A60: D3D70050 1D423984
	v_mfma_i32_16x16x32_i8 v[80:83], a[134:135], a[30:31], v[80:83]// 000000004A68: D3D70050 1D423D86
	buffer_load_dword v61, s[20:23], 0 offen lds               // 000000004A70: E0511000 8005003D
	s_add_u32 m0, 0x800, s48                                   // 000000004A78: 807C30FF 00000800
	v_mfma_i32_16x16x32_i8 v[104:107], a[136:137], a[24:25], v[104:107]// 000000004A80: D3D70068 1DA23188
	v_mfma_i32_16x16x32_i8 v[104:107], a[138:139], a[26:27], v[104:107]// 000000004A88: D3D70068 1DA2358A
	buffer_load_dword v62, s[20:23], 0 offen lds               // 000000004A90: E0511000 8005003E
	s_add_u32 m0, 0x900, s48                                   // 000000004A98: 807C30FF 00000900
	v_mfma_i32_16x16x32_i8 v[104:107], a[140:141], a[28:29], v[104:107]// 000000004AA0: D3D70068 1DA2398C
	v_mfma_i32_16x16x32_i8 v[104:107], a[142:143], a[30:31], v[104:107]// 000000004AA8: D3D70068 1DA23D8E
	buffer_load_dword v63, s[20:23], 0 offen lds               // 000000004AB0: E0511000 8005003F
	s_add_u32 m0, 0xa00, s48                                   // 000000004AB8: 807C30FF 00000A00
	v_mfma_i32_16x16x32_i8 v[84:87], a[128:129], a[32:33], v[84:87]// 000000004AC0: D3D70054 1D524180
	v_mfma_i32_16x16x32_i8 v[84:87], a[130:131], a[34:35], v[84:87]// 000000004AC8: D3D70054 1D524582
	buffer_load_dword v64, s[20:23], 0 offen lds               // 000000004AD0: E0511000 80050040
	s_add_u32 m0, 0xb00, s48                                   // 000000004AD8: 807C30FF 00000B00
	v_mfma_i32_16x16x32_i8 v[84:87], a[132:133], a[36:37], v[84:87]// 000000004AE0: D3D70054 1D524984
	v_mfma_i32_16x16x32_i8 v[84:87], a[134:135], a[38:39], v[84:87]// 000000004AE8: D3D70054 1D524D86
	buffer_load_dword v65, s[20:23], 0 offen lds               // 000000004AF0: E0511000 80050041
	s_add_u32 m0, 0, s49                                       // 000000004AF8: 807C3180
	v_mfma_i32_16x16x32_i8 v[108:111], a[136:137], a[32:33], v[108:111]// 000000004AFC: D3D7006C 1DB24188
	v_mfma_i32_16x16x32_i8 v[108:111], a[138:139], a[34:35], v[108:111]// 000000004B04: D3D7006C 1DB2458A
	v_mfma_i32_16x16x32_i8 v[108:111], a[140:141], a[36:37], v[108:111]// 000000004B0C: D3D7006C 1DB2498C
	v_mfma_i32_16x16x32_i8 v[108:111], a[142:143], a[38:39], v[108:111]// 000000004B14: D3D7006C 1DB24D8E
	v_mfma_i32_16x16x32_i8 v[88:91], a[128:129], a[40:41], v[88:91]// 000000004B1C: D3D70058 1D625180
	v_mfma_i32_16x16x32_i8 v[88:91], a[130:131], a[42:43], v[88:91]// 000000004B24: D3D70058 1D625582
	v_mfma_i32_16x16x32_i8 v[88:91], a[132:133], a[44:45], v[88:91]// 000000004B2C: D3D70058 1D625984
	v_mfma_i32_16x16x32_i8 v[88:91], a[134:135], a[46:47], v[88:91]// 000000004B34: D3D70058 1D625D86
	v_mfma_i32_16x16x32_i8 v[112:115], a[136:137], a[40:41], v[112:115]// 000000004B3C: D3D70070 1DC25188
	v_mfma_i32_16x16x32_i8 v[112:115], a[138:139], a[42:43], v[112:115]// 000000004B44: D3D70070 1DC2558A
	v_mfma_i32_16x16x32_i8 v[112:115], a[140:141], a[44:45], v[112:115]// 000000004B4C: D3D70070 1DC2598C
	v_mfma_i32_16x16x32_i8 v[112:115], a[142:143], a[46:47], v[112:115]// 000000004B54: D3D70070 1DC25D8E
	s_waitcnt vmcnt(16)                                        // 000000004B5C: BF8C4F70
	s_barrier                                                  // 000000004B60: BF8A0000
	v_mfma_i32_16x16x32_i8 v[116:119], a[96:97], a[0:1], v[116:119]// 000000004B64: D3D70074 1DD20160
	v_mfma_i32_16x16x32_i8 v[116:119], a[98:99], a[2:3], v[116:119]// 000000004B6C: D3D70074 1DD20562
	buffer_load_dwordx4 a[128:131], v66, s[84:87], 0 offen     // 000000004B74: E05C1000 80958042
	v_mfma_i32_16x16x32_i8 v[116:119], a[100:101], a[4:5], v[116:119]// 000000004B7C: D3D70074 1DD20964
	v_mfma_i32_16x16x32_i8 v[116:119], a[102:103], a[6:7], v[116:119]// 000000004B84: D3D70074 1DD20D66
	ds_read_b128 a[48:51], v2 offset:24832                     // 000000004B8C: DBFE6100 30000002
	ds_read_b128 a[52:55], v2 offset:24896                     // 000000004B94: DBFE6140 34000002
	v_mfma_i32_16x16x32_i8 v[140:143], a[104:105], a[0:1], v[140:143]// 000000004B9C: D3D7008C 1E320168
	v_mfma_i32_16x16x32_i8 v[140:143], a[106:107], a[2:3], v[140:143]// 000000004BA4: D3D7008C 1E32056A
	buffer_load_dwordx4 a[132:135], v66, s[84:87], 0 offen offset:1024// 000000004BAC: E05C1400 80958442
	v_mfma_i32_16x16x32_i8 v[140:143], a[108:109], a[4:5], v[140:143]// 000000004BB4: D3D7008C 1E32096C
	v_mfma_i32_16x16x32_i8 v[140:143], a[110:111], a[6:7], v[140:143]// 000000004BBC: D3D7008C 1E320D6E
	ds_read_b128 a[56:59], v2 offset:25344                     // 000000004BC4: DBFE6300 38000002
	ds_read_b128 a[60:63], v2 offset:25408                     // 000000004BCC: DBFE6340 3C000002
	v_mfma_i32_16x16x32_i8 v[120:123], a[96:97], a[8:9], v[120:123]// 000000004BD4: D3D70078 1DE21160
	v_mfma_i32_16x16x32_i8 v[120:123], a[98:99], a[10:11], v[120:123]// 000000004BDC: D3D70078 1DE21562
	buffer_load_dwordx4 a[136:139], v67, s[84:87], 0 offen     // 000000004BE4: E05C1000 80958843
	v_mfma_i32_16x16x32_i8 v[120:123], a[100:101], a[12:13], v[120:123]// 000000004BEC: D3D70078 1DE21964
	v_mfma_i32_16x16x32_i8 v[120:123], a[102:103], a[14:15], v[120:123]// 000000004BF4: D3D70078 1DE21D66
	ds_read_b128 a[64:67], v2 offset:25856                     // 000000004BFC: DBFE6500 40000002
	ds_read_b128 a[68:71], v2 offset:25920                     // 000000004C04: DBFE6540 44000002
	v_mfma_i32_16x16x32_i8 v[144:147], a[104:105], a[8:9], v[144:147]// 000000004C0C: D3D70090 1E421168
	v_mfma_i32_16x16x32_i8 v[144:147], a[106:107], a[10:11], v[144:147]// 000000004C14: D3D70090 1E42156A
	buffer_load_dwordx4 a[140:143], v67, s[84:87], 0 offen offset:1024// 000000004C1C: E05C1400 80958C43
	v_mfma_i32_16x16x32_i8 v[144:147], a[108:109], a[12:13], v[144:147]// 000000004C24: D3D70090 1E42196C
	v_mfma_i32_16x16x32_i8 v[144:147], a[110:111], a[14:15], v[144:147]// 000000004C2C: D3D70090 1E421D6E
	ds_read_b128 a[72:75], v2 offset:26368                     // 000000004C34: DBFE6700 48000002
	ds_read_b128 a[76:79], v2 offset:26432                     // 000000004C3C: DBFE6740 4C000002
	v_mfma_i32_16x16x32_i8 v[124:127], a[96:97], a[16:17], v[124:127]// 000000004C44: D3D7007C 1DF22160
	v_mfma_i32_16x16x32_i8 v[124:127], a[98:99], a[18:19], v[124:127]// 000000004C4C: D3D7007C 1DF22562
	v_mfma_i32_16x16x32_i8 v[124:127], a[100:101], a[20:21], v[124:127]// 000000004C54: D3D7007C 1DF22964
	v_mfma_i32_16x16x32_i8 v[124:127], a[102:103], a[22:23], v[124:127]// 000000004C5C: D3D7007C 1DF22D66
	ds_read_b128 a[80:83], v2 offset:26880                     // 000000004C64: DBFE6900 50000002
	ds_read_b128 a[84:87], v2 offset:26944                     // 000000004C6C: DBFE6940 54000002
	v_mfma_i32_16x16x32_i8 v[148:151], a[104:105], a[16:17], v[148:151]// 000000004C74: D3D70094 1E522168
	v_mfma_i32_16x16x32_i8 v[148:151], a[106:107], a[18:19], v[148:151]// 000000004C7C: D3D70094 1E52256A
	v_mfma_i32_16x16x32_i8 v[148:151], a[108:109], a[20:21], v[148:151]// 000000004C84: D3D70094 1E52296C
	v_mfma_i32_16x16x32_i8 v[148:151], a[110:111], a[22:23], v[148:151]// 000000004C8C: D3D70094 1E522D6E
	ds_read_b128 a[88:91], v2 offset:27392                     // 000000004C94: DBFE6B00 58000002
	ds_read_b128 a[92:95], v2 offset:27456                     // 000000004C9C: DBFE6B40 5C000002
	v_mfma_i32_16x16x32_i8 v[128:131], a[96:97], a[24:25], v[128:131]// 000000004CA4: D3D70080 1E023160
	v_mfma_i32_16x16x32_i8 v[128:131], a[98:99], a[26:27], v[128:131]// 000000004CAC: D3D70080 1E023562
	v_mfma_i32_16x16x32_i8 v[128:131], a[100:101], a[28:29], v[128:131]// 000000004CB4: D3D70080 1E023964
	v_mfma_i32_16x16x32_i8 v[128:131], a[102:103], a[30:31], v[128:131]// 000000004CBC: D3D70080 1E023D66
	v_mfma_i32_16x16x32_i8 v[152:155], a[104:105], a[24:25], v[152:155]// 000000004CC4: D3D70098 1E623168
	v_mfma_i32_16x16x32_i8 v[152:155], a[106:107], a[26:27], v[152:155]// 000000004CCC: D3D70098 1E62356A
	v_mfma_i32_16x16x32_i8 v[152:155], a[108:109], a[28:29], v[152:155]// 000000004CD4: D3D70098 1E62396C
	v_mfma_i32_16x16x32_i8 v[152:155], a[110:111], a[30:31], v[152:155]// 000000004CDC: D3D70098 1E623D6E
	v_mfma_i32_16x16x32_i8 v[132:135], a[96:97], a[32:33], v[132:135]// 000000004CE4: D3D70084 1E124160
	v_mfma_i32_16x16x32_i8 v[132:135], a[98:99], a[34:35], v[132:135]// 000000004CEC: D3D70084 1E124562
	v_mfma_i32_16x16x32_i8 v[132:135], a[100:101], a[36:37], v[132:135]// 000000004CF4: D3D70084 1E124964
	v_mfma_i32_16x16x32_i8 v[132:135], a[102:103], a[38:39], v[132:135]// 000000004CFC: D3D70084 1E124D66
	v_mfma_i32_16x16x32_i8 v[156:159], a[104:105], a[32:33], v[156:159]// 000000004D04: D3D7009C 1E724168
	v_mfma_i32_16x16x32_i8 v[156:159], a[106:107], a[34:35], v[156:159]// 000000004D0C: D3D7009C 1E72456A
	v_mfma_i32_16x16x32_i8 v[156:159], a[108:109], a[36:37], v[156:159]// 000000004D14: D3D7009C 1E72496C
	v_mfma_i32_16x16x32_i8 v[156:159], a[110:111], a[38:39], v[156:159]// 000000004D1C: D3D7009C 1E724D6E
	v_mfma_i32_16x16x32_i8 v[136:139], a[96:97], a[40:41], v[136:139]// 000000004D24: D3D70088 1E225160
	s_add_u32 s60, 0x180, s80                                  // 000000004D2C: 803C50FF 00000180
	s_cmp_lt_u32 s60, s81                                      // 000000004D34: BF0A513C
	s_cselect_b32 s57, s57, 0                                  // 000000004D38: 85398039
	v_mfma_i32_16x16x32_i8 v[136:139], a[98:99], a[42:43], v[136:139]// 000000004D3C: D3D70088 1E225562
	s_add_u32 s60, 0x100, s80                                  // 000000004D44: 803C50FF 00000100
	s_cmp_lt_u32 s60, s81                                      // 000000004D4C: BF0A513C
	s_cselect_b32 s58, s58, 0                                  // 000000004D50: 853A803A
	v_mfma_i32_16x16x32_i8 v[136:139], a[100:101], a[44:45], v[136:139]// 000000004D54: D3D70088 1E225964
	s_add_u32 s60, 0x100, s80                                  // 000000004D5C: 803C50FF 00000100
	s_cmp_lt_u32 s60, s81                                      // 000000004D64: BF0A513C
	s_cselect_b32 s83, s83, 0                                  // 000000004D68: 85538053
	v_mfma_i32_16x16x32_i8 v[136:139], a[102:103], a[46:47], v[136:139]// 000000004D6C: D3D70088 1E225D66
	s_add_u32 s24, s58, s24                                    // 000000004D74: 8018183A
	s_addc_u32 s25, 0, s25                                     // 000000004D78: 82191980
	v_mfma_i32_16x16x32_i8 v[160:163], a[104:105], a[40:41], v[160:163]// 000000004D7C: D3D700A0 1E825168
	s_add_u32 s20, s57, s20                                    // 000000004D84: 80141439
	s_addc_u32 s21, 0, s21                                     // 000000004D88: 82151580
	v_mfma_i32_16x16x32_i8 v[160:163], a[106:107], a[42:43], v[160:163]// 000000004D8C: D3D700A0 1E82556A
	s_add_u32 s84, s83, s84                                    // 000000004D94: 80545453
	s_addc_u32 s85, 0, s85                                     // 000000004D98: 82555580
	v_mfma_i32_16x16x32_i8 v[160:163], a[108:109], a[44:45], v[160:163]// 000000004D9C: D3D700A0 1E82596C
	v_mfma_i32_16x16x32_i8 v[160:163], a[110:111], a[46:47], v[160:163]// 000000004DA4: D3D700A0 1E825D6E
	s_addk_i32 s80, 0x80                                       // 000000004DAC: B7500080
	s_cmp_lt_i32 s80, s81                                      // 000000004DB0: BF045150
	s_cbranch_scc0 label_0A1E                                  // 000000004DB4: BF840130
	s_waitcnt vmcnt(16) lgkmcnt(0)                             // 000000004DB8: BF8C4070
	v_mfma_i32_16x16x32_i8 v[68:71], a[112:113], a[48:49], v[68:71]// 000000004DBC: D3D70044 1D126170
	v_mfma_i32_16x16x32_i8 v[68:71], a[114:115], a[50:51], v[68:71]// 000000004DC4: D3D70044 1D126572
	buffer_load_dwordx4 a[96:99], v66, s[24:27], 0 offen       // 000000004DCC: E05C1000 80866042
	v_mfma_i32_16x16x32_i8 v[68:71], a[116:117], a[52:53], v[68:71]// 000000004DD4: D3D70044 1D126974
	v_mfma_i32_16x16x32_i8 v[68:71], a[118:119], a[54:55], v[68:71]// 000000004DDC: D3D70044 1D126D76
	v_mfma_i32_16x16x32_i8 v[92:95], a[120:121], a[48:49], v[92:95]// 000000004DE4: D3D7005C 1D726178
	v_mfma_i32_16x16x32_i8 v[92:95], a[122:123], a[50:51], v[92:95]// 000000004DEC: D3D7005C 1D72657A
	buffer_load_dwordx4 a[100:103], v66, s[24:27], 0 offen offset:1024// 000000004DF4: E05C1400 80866442
	v_mfma_i32_16x16x32_i8 v[92:95], a[124:125], a[52:53], v[92:95]// 000000004DFC: D3D7005C 1D72697C
	v_mfma_i32_16x16x32_i8 v[92:95], a[126:127], a[54:55], v[92:95]// 000000004E04: D3D7005C 1D726D7E
	v_mfma_i32_16x16x32_i8 v[72:75], a[112:113], a[56:57], v[72:75]// 000000004E0C: D3D70048 1D227170
	v_mfma_i32_16x16x32_i8 v[72:75], a[114:115], a[58:59], v[72:75]// 000000004E14: D3D70048 1D227572
	buffer_load_dwordx4 a[104:107], v67, s[24:27], 0 offen     // 000000004E1C: E05C1000 80866843
	v_mfma_i32_16x16x32_i8 v[72:75], a[116:117], a[60:61], v[72:75]// 000000004E24: D3D70048 1D227974
	v_mfma_i32_16x16x32_i8 v[72:75], a[118:119], a[62:63], v[72:75]// 000000004E2C: D3D70048 1D227D76
	v_mfma_i32_16x16x32_i8 v[96:99], a[120:121], a[56:57], v[96:99]// 000000004E34: D3D70060 1D827178
	v_mfma_i32_16x16x32_i8 v[96:99], a[122:123], a[58:59], v[96:99]// 000000004E3C: D3D70060 1D82757A
	buffer_load_dwordx4 a[108:111], v67, s[24:27], 0 offen offset:1024// 000000004E44: E05C1400 80866C43
	buffer_load_dword v54, s[20:23], 0 offen lds               // 000000004E4C: E0511000 80050036
	s_add_u32 m0, 0x100, s49                                   // 000000004E54: 807C31FF 00000100
	v_mfma_i32_16x16x32_i8 v[96:99], a[124:125], a[60:61], v[96:99]// 000000004E5C: D3D70060 1D82797C
	v_mfma_i32_16x16x32_i8 v[96:99], a[126:127], a[62:63], v[96:99]// 000000004E64: D3D70060 1D827D7E
	buffer_load_dword v55, s[20:23], 0 offen lds               // 000000004E6C: E0511000 80050037
	s_add_u32 m0, 0x200, s49                                   // 000000004E74: 807C31FF 00000200
	v_mfma_i32_16x16x32_i8 v[76:79], a[112:113], a[64:65], v[76:79]// 000000004E7C: D3D7004C 1D328170
	v_mfma_i32_16x16x32_i8 v[76:79], a[114:115], a[66:67], v[76:79]// 000000004E84: D3D7004C 1D328572
	buffer_load_dword v56, s[20:23], 0 offen lds               // 000000004E8C: E0511000 80050038
	s_add_u32 m0, 0x300, s49                                   // 000000004E94: 807C31FF 00000300
	v_mfma_i32_16x16x32_i8 v[76:79], a[116:117], a[68:69], v[76:79]// 000000004E9C: D3D7004C 1D328974
	v_mfma_i32_16x16x32_i8 v[76:79], a[118:119], a[70:71], v[76:79]// 000000004EA4: D3D7004C 1D328D76
	buffer_load_dword v57, s[20:23], 0 offen lds               // 000000004EAC: E0511000 80050039
	s_add_u32 m0, 0x400, s49                                   // 000000004EB4: 807C31FF 00000400
	v_mfma_i32_16x16x32_i8 v[100:103], a[120:121], a[64:65], v[100:103]// 000000004EBC: D3D70064 1D928178
	v_mfma_i32_16x16x32_i8 v[100:103], a[122:123], a[66:67], v[100:103]// 000000004EC4: D3D70064 1D92857A
	buffer_load_dword v58, s[20:23], 0 offen lds               // 000000004ECC: E0511000 8005003A
	s_add_u32 m0, 0x500, s49                                   // 000000004ED4: 807C31FF 00000500
	v_mfma_i32_16x16x32_i8 v[100:103], a[124:125], a[68:69], v[100:103]// 000000004EDC: D3D70064 1D92897C
	v_mfma_i32_16x16x32_i8 v[100:103], a[126:127], a[70:71], v[100:103]// 000000004EE4: D3D70064 1D928D7E
	buffer_load_dword v59, s[20:23], 0 offen lds               // 000000004EEC: E0511000 8005003B
	s_add_u32 m0, 0x600, s49                                   // 000000004EF4: 807C31FF 00000600
	v_mfma_i32_16x16x32_i8 v[80:83], a[112:113], a[72:73], v[80:83]// 000000004EFC: D3D70050 1D429170
	v_mfma_i32_16x16x32_i8 v[80:83], a[114:115], a[74:75], v[80:83]// 000000004F04: D3D70050 1D429572
	buffer_load_dword v60, s[20:23], 0 offen lds               // 000000004F0C: E0511000 8005003C
	s_add_u32 m0, 0x700, s49                                   // 000000004F14: 807C31FF 00000700
	v_mfma_i32_16x16x32_i8 v[80:83], a[116:117], a[76:77], v[80:83]// 000000004F1C: D3D70050 1D429974
	v_mfma_i32_16x16x32_i8 v[80:83], a[118:119], a[78:79], v[80:83]// 000000004F24: D3D70050 1D429D76
	buffer_load_dword v61, s[20:23], 0 offen lds               // 000000004F2C: E0511000 8005003D
	s_add_u32 m0, 0x800, s49                                   // 000000004F34: 807C31FF 00000800
	v_mfma_i32_16x16x32_i8 v[104:107], a[120:121], a[72:73], v[104:107]// 000000004F3C: D3D70068 1DA29178
	v_mfma_i32_16x16x32_i8 v[104:107], a[122:123], a[74:75], v[104:107]// 000000004F44: D3D70068 1DA2957A
	buffer_load_dword v62, s[20:23], 0 offen lds               // 000000004F4C: E0511000 8005003E
	s_add_u32 m0, 0x900, s49                                   // 000000004F54: 807C31FF 00000900
	v_mfma_i32_16x16x32_i8 v[104:107], a[124:125], a[76:77], v[104:107]// 000000004F5C: D3D70068 1DA2997C
	v_mfma_i32_16x16x32_i8 v[104:107], a[126:127], a[78:79], v[104:107]// 000000004F64: D3D70068 1DA29D7E
	buffer_load_dword v63, s[20:23], 0 offen lds               // 000000004F6C: E0511000 8005003F
	s_add_u32 m0, 0xa00, s49                                   // 000000004F74: 807C31FF 00000A00
	v_mfma_i32_16x16x32_i8 v[84:87], a[112:113], a[80:81], v[84:87]// 000000004F7C: D3D70054 1D52A170
	v_mfma_i32_16x16x32_i8 v[84:87], a[114:115], a[82:83], v[84:87]// 000000004F84: D3D70054 1D52A572
	buffer_load_dword v64, s[20:23], 0 offen lds               // 000000004F8C: E0511000 80050040
	s_add_u32 m0, 0xb00, s49                                   // 000000004F94: 807C31FF 00000B00
	v_mfma_i32_16x16x32_i8 v[84:87], a[116:117], a[84:85], v[84:87]// 000000004F9C: D3D70054 1D52A974
	v_mfma_i32_16x16x32_i8 v[84:87], a[118:119], a[86:87], v[84:87]// 000000004FA4: D3D70054 1D52AD76
	buffer_load_dword v65, s[20:23], 0 offen lds               // 000000004FAC: E0511000 80050041
	s_add_u32 m0, 0, s50                                       // 000000004FB4: 807C3280
	v_mfma_i32_16x16x32_i8 v[108:111], a[120:121], a[80:81], v[108:111]// 000000004FB8: D3D7006C 1DB2A178
	v_mfma_i32_16x16x32_i8 v[108:111], a[122:123], a[82:83], v[108:111]// 000000004FC0: D3D7006C 1DB2A57A
	v_mfma_i32_16x16x32_i8 v[108:111], a[124:125], a[84:85], v[108:111]// 000000004FC8: D3D7006C 1DB2A97C
	v_mfma_i32_16x16x32_i8 v[108:111], a[126:127], a[86:87], v[108:111]// 000000004FD0: D3D7006C 1DB2AD7E
	v_mfma_i32_16x16x32_i8 v[88:91], a[112:113], a[88:89], v[88:91]// 000000004FD8: D3D70058 1D62B170
	v_mfma_i32_16x16x32_i8 v[88:91], a[114:115], a[90:91], v[88:91]// 000000004FE0: D3D70058 1D62B572
	v_mfma_i32_16x16x32_i8 v[88:91], a[116:117], a[92:93], v[88:91]// 000000004FE8: D3D70058 1D62B974
	v_mfma_i32_16x16x32_i8 v[88:91], a[118:119], a[94:95], v[88:91]// 000000004FF0: D3D70058 1D62BD76
	v_mfma_i32_16x16x32_i8 v[112:115], a[120:121], a[88:89], v[112:115]// 000000004FF8: D3D70070 1DC2B178
	v_mfma_i32_16x16x32_i8 v[112:115], a[122:123], a[90:91], v[112:115]// 000000005000: D3D70070 1DC2B57A
	v_mfma_i32_16x16x32_i8 v[112:115], a[124:125], a[92:93], v[112:115]// 000000005008: D3D70070 1DC2B97C
	v_mfma_i32_16x16x32_i8 v[112:115], a[126:127], a[94:95], v[112:115]// 000000005010: D3D70070 1DC2BD7E
	s_waitcnt vmcnt(16)                                        // 000000005018: BF8C4F70
	s_barrier                                                  // 00000000501C: BF8A0000
	v_mfma_i32_16x16x32_i8 v[116:119], a[128:129], a[48:49], v[116:119]// 000000005020: D3D70074 1DD26180
	v_mfma_i32_16x16x32_i8 v[116:119], a[130:131], a[50:51], v[116:119]// 000000005028: D3D70074 1DD26582
	buffer_load_dwordx4 a[112:115], v66, s[84:87], 0 offen     // 000000005030: E05C1000 80957042
	v_mfma_i32_16x16x32_i8 v[116:119], a[132:133], a[52:53], v[116:119]// 000000005038: D3D70074 1DD26984
	v_mfma_i32_16x16x32_i8 v[116:119], a[134:135], a[54:55], v[116:119]// 000000005040: D3D70074 1DD26D86
	ds_read_b128 a[0:3], v2                                    // 000000005048: DBFE0000 00000002
	ds_read_b128 a[4:7], v2 offset:64                          // 000000005050: DBFE0040 04000002
	v_mfma_i32_16x16x32_i8 v[140:143], a[136:137], a[48:49], v[140:143]// 000000005058: D3D7008C 1E326188
	v_mfma_i32_16x16x32_i8 v[140:143], a[138:139], a[50:51], v[140:143]// 000000005060: D3D7008C 1E32658A
	buffer_load_dwordx4 a[116:119], v66, s[84:87], 0 offen offset:1024// 000000005068: E05C1400 80957442
	v_mfma_i32_16x16x32_i8 v[140:143], a[140:141], a[52:53], v[140:143]// 000000005070: D3D7008C 1E32698C
	v_mfma_i32_16x16x32_i8 v[140:143], a[142:143], a[54:55], v[140:143]// 000000005078: D3D7008C 1E326D8E
	ds_read_b128 a[8:11], v2 offset:512                        // 000000005080: DBFE0200 08000002
	ds_read_b128 a[12:15], v2 offset:576                       // 000000005088: DBFE0240 0C000002
	v_mfma_i32_16x16x32_i8 v[120:123], a[128:129], a[56:57], v[120:123]// 000000005090: D3D70078 1DE27180
	v_mfma_i32_16x16x32_i8 v[120:123], a[130:131], a[58:59], v[120:123]// 000000005098: D3D70078 1DE27582
	buffer_load_dwordx4 a[120:123], v67, s[84:87], 0 offen     // 0000000050A0: E05C1000 80957843
	v_mfma_i32_16x16x32_i8 v[120:123], a[132:133], a[60:61], v[120:123]// 0000000050A8: D3D70078 1DE27984
	v_mfma_i32_16x16x32_i8 v[120:123], a[134:135], a[62:63], v[120:123]// 0000000050B0: D3D70078 1DE27D86
	ds_read_b128 a[16:19], v2 offset:1024                      // 0000000050B8: DBFE0400 10000002
	ds_read_b128 a[20:23], v2 offset:1088                      // 0000000050C0: DBFE0440 14000002
	v_mfma_i32_16x16x32_i8 v[144:147], a[136:137], a[56:57], v[144:147]// 0000000050C8: D3D70090 1E427188
	v_mfma_i32_16x16x32_i8 v[144:147], a[138:139], a[58:59], v[144:147]// 0000000050D0: D3D70090 1E42758A
	buffer_load_dwordx4 a[124:127], v67, s[84:87], 0 offen offset:1024// 0000000050D8: E05C1400 80957C43
	v_mfma_i32_16x16x32_i8 v[144:147], a[140:141], a[60:61], v[144:147]// 0000000050E0: D3D70090 1E42798C
	v_mfma_i32_16x16x32_i8 v[144:147], a[142:143], a[62:63], v[144:147]// 0000000050E8: D3D70090 1E427D8E
	ds_read_b128 a[24:27], v2 offset:1536                      // 0000000050F0: DBFE0600 18000002
	ds_read_b128 a[28:31], v2 offset:1600                      // 0000000050F8: DBFE0640 1C000002
	v_mfma_i32_16x16x32_i8 v[124:127], a[128:129], a[64:65], v[124:127]// 000000005100: D3D7007C 1DF28180
	v_mfma_i32_16x16x32_i8 v[124:127], a[130:131], a[66:67], v[124:127]// 000000005108: D3D7007C 1DF28582
	v_mfma_i32_16x16x32_i8 v[124:127], a[132:133], a[68:69], v[124:127]// 000000005110: D3D7007C 1DF28984
	v_mfma_i32_16x16x32_i8 v[124:127], a[134:135], a[70:71], v[124:127]// 000000005118: D3D7007C 1DF28D86
	ds_read_b128 a[32:35], v2 offset:2048                      // 000000005120: DBFE0800 20000002
	ds_read_b128 a[36:39], v2 offset:2112                      // 000000005128: DBFE0840 24000002
	v_mfma_i32_16x16x32_i8 v[148:151], a[136:137], a[64:65], v[148:151]// 000000005130: D3D70094 1E528188
	v_mfma_i32_16x16x32_i8 v[148:151], a[138:139], a[66:67], v[148:151]// 000000005138: D3D70094 1E52858A
	v_mfma_i32_16x16x32_i8 v[148:151], a[140:141], a[68:69], v[148:151]// 000000005140: D3D70094 1E52898C
	v_mfma_i32_16x16x32_i8 v[148:151], a[142:143], a[70:71], v[148:151]// 000000005148: D3D70094 1E528D8E
	ds_read_b128 a[40:43], v2 offset:2560                      // 000000005150: DBFE0A00 28000002
	ds_read_b128 a[44:47], v2 offset:2624                      // 000000005158: DBFE0A40 2C000002
	v_mfma_i32_16x16x32_i8 v[128:131], a[128:129], a[72:73], v[128:131]// 000000005160: D3D70080 1E029180
	v_mfma_i32_16x16x32_i8 v[128:131], a[130:131], a[74:75], v[128:131]// 000000005168: D3D70080 1E029582
	v_mfma_i32_16x16x32_i8 v[128:131], a[132:133], a[76:77], v[128:131]// 000000005170: D3D70080 1E029984
	v_mfma_i32_16x16x32_i8 v[128:131], a[134:135], a[78:79], v[128:131]// 000000005178: D3D70080 1E029D86
	v_mfma_i32_16x16x32_i8 v[152:155], a[136:137], a[72:73], v[152:155]// 000000005180: D3D70098 1E629188
	v_mfma_i32_16x16x32_i8 v[152:155], a[138:139], a[74:75], v[152:155]// 000000005188: D3D70098 1E62958A
	v_mfma_i32_16x16x32_i8 v[152:155], a[140:141], a[76:77], v[152:155]// 000000005190: D3D70098 1E62998C
	v_mfma_i32_16x16x32_i8 v[152:155], a[142:143], a[78:79], v[152:155]// 000000005198: D3D70098 1E629D8E
	v_mfma_i32_16x16x32_i8 v[132:135], a[128:129], a[80:81], v[132:135]// 0000000051A0: D3D70084 1E12A180
	v_mfma_i32_16x16x32_i8 v[132:135], a[130:131], a[82:83], v[132:135]// 0000000051A8: D3D70084 1E12A582
	v_mfma_i32_16x16x32_i8 v[132:135], a[132:133], a[84:85], v[132:135]// 0000000051B0: D3D70084 1E12A984
	v_mfma_i32_16x16x32_i8 v[132:135], a[134:135], a[86:87], v[132:135]// 0000000051B8: D3D70084 1E12AD86
	v_mfma_i32_16x16x32_i8 v[156:159], a[136:137], a[80:81], v[156:159]// 0000000051C0: D3D7009C 1E72A188
	v_mfma_i32_16x16x32_i8 v[156:159], a[138:139], a[82:83], v[156:159]// 0000000051C8: D3D7009C 1E72A58A
	v_mfma_i32_16x16x32_i8 v[156:159], a[140:141], a[84:85], v[156:159]// 0000000051D0: D3D7009C 1E72A98C
	v_mfma_i32_16x16x32_i8 v[156:159], a[142:143], a[86:87], v[156:159]// 0000000051D8: D3D7009C 1E72AD8E
	v_mfma_i32_16x16x32_i8 v[136:139], a[128:129], a[88:89], v[136:139]// 0000000051E0: D3D70088 1E22B180
	s_add_u32 s60, 0x180, s80                                  // 0000000051E8: 803C50FF 00000180
	s_cmp_lt_u32 s60, s81                                      // 0000000051F0: BF0A513C
	s_cselect_b32 s57, s57, 0                                  // 0000000051F4: 85398039
	v_mfma_i32_16x16x32_i8 v[136:139], a[130:131], a[90:91], v[136:139]// 0000000051F8: D3D70088 1E22B582
	s_add_u32 s60, 0x100, s80                                  // 000000005200: 803C50FF 00000100
	s_cmp_lt_u32 s60, s81                                      // 000000005208: BF0A513C
	s_cselect_b32 s58, s58, 0                                  // 00000000520C: 853A803A
	v_mfma_i32_16x16x32_i8 v[136:139], a[132:133], a[92:93], v[136:139]// 000000005210: D3D70088 1E22B984
	s_add_u32 s60, 0x100, s80                                  // 000000005218: 803C50FF 00000100
	s_cmp_lt_u32 s60, s81                                      // 000000005220: BF0A513C
	s_cselect_b32 s83, s83, 0                                  // 000000005224: 85538053
	v_mfma_i32_16x16x32_i8 v[136:139], a[134:135], a[94:95], v[136:139]// 000000005228: D3D70088 1E22BD86
	s_add_u32 s24, s58, s24                                    // 000000005230: 8018183A
	s_addc_u32 s25, 0, s25                                     // 000000005234: 82191980
	v_mfma_i32_16x16x32_i8 v[160:163], a[136:137], a[88:89], v[160:163]// 000000005238: D3D700A0 1E82B188
	s_add_u32 s20, s57, s20                                    // 000000005240: 80141439
	s_addc_u32 s21, 0, s21                                     // 000000005244: 82151580
	v_mfma_i32_16x16x32_i8 v[160:163], a[138:139], a[90:91], v[160:163]// 000000005248: D3D700A0 1E82B58A
	s_add_u32 s84, s83, s84                                    // 000000005250: 80545453
	s_addc_u32 s85, 0, s85                                     // 000000005254: 82555580
	v_mfma_i32_16x16x32_i8 v[160:163], a[140:141], a[92:93], v[160:163]// 000000005258: D3D700A0 1E82B98C
	v_mfma_i32_16x16x32_i8 v[160:163], a[142:143], a[94:95], v[160:163]// 000000005260: D3D700A0 1E82BD8E
	s_addk_i32 s80, 0x80                                       // 000000005268: B7500080
	s_cmp_lt_i32 s80, s81                                      // 00000000526C: BF045150
	s_cbranch_scc0 label_0A1E                                  // 000000005270: BF840001
	s_branch label_0303                                        // 000000005274: BF82F8E5

0000000000005278 <label_0A1E>:
	v_cvt_f32_i32_e32 v68, v68                                 // 000000005278: 7E880B44
	v_cvt_f32_i32_e32 v69, v69                                 // 00000000527C: 7E8A0B45
	v_cvt_f32_i32_e32 v70, v70                                 // 000000005280: 7E8C0B46
	v_cvt_f32_i32_e32 v71, v71                                 // 000000005284: 7E8E0B47
	v_mul_f32_dpp v68, v24, v68 row_newbcast:0 row_mask:0xf bank_mask:0xf// 000000005288: 0A8888FA FF015018
	v_mul_f32_dpp v69, v24, v69 row_newbcast:1 row_mask:0xf bank_mask:0xf// 000000005290: 0A8A8AFA FF015118
	v_mul_f32_dpp v70, v24, v70 row_newbcast:2 row_mask:0xf bank_mask:0xf// 000000005298: 0A8C8CFA FF015218
	v_mul_f32_dpp v71, v24, v71 row_newbcast:3 row_mask:0xf bank_mask:0xf// 0000000052A0: 0A8E8EFA FF015318
	v_cvt_f32_i32_e32 v72, v72                                 // 0000000052A8: 7E900B48
	v_cvt_f32_i32_e32 v73, v73                                 // 0000000052AC: 7E920B49
	v_cvt_f32_i32_e32 v74, v74                                 // 0000000052B0: 7E940B4A
	v_cvt_f32_i32_e32 v75, v75                                 // 0000000052B4: 7E960B4B
	v_mul_f32_dpp v72, v24, v72 row_newbcast:0 row_mask:0xf bank_mask:0xf// 0000000052B8: 0A9090FA FF015018
	v_mul_f32_dpp v73, v24, v73 row_newbcast:1 row_mask:0xf bank_mask:0xf// 0000000052C0: 0A9292FA FF015118
	v_mul_f32_dpp v74, v24, v74 row_newbcast:2 row_mask:0xf bank_mask:0xf// 0000000052C8: 0A9494FA FF015218
	v_mul_f32_dpp v75, v24, v75 row_newbcast:3 row_mask:0xf bank_mask:0xf// 0000000052D0: 0A9696FA FF015318
	v_cvt_f32_i32_e32 v76, v76                                 // 0000000052D8: 7E980B4C
	v_cvt_f32_i32_e32 v77, v77                                 // 0000000052DC: 7E9A0B4D
	v_cvt_f32_i32_e32 v78, v78                                 // 0000000052E0: 7E9C0B4E
	v_cvt_f32_i32_e32 v79, v79                                 // 0000000052E4: 7E9E0B4F
	v_mul_f32_dpp v76, v24, v76 row_newbcast:0 row_mask:0xf bank_mask:0xf// 0000000052E8: 0A9898FA FF015018
	v_mul_f32_dpp v77, v24, v77 row_newbcast:1 row_mask:0xf bank_mask:0xf// 0000000052F0: 0A9A9AFA FF015118
	v_mul_f32_dpp v78, v24, v78 row_newbcast:2 row_mask:0xf bank_mask:0xf// 0000000052F8: 0A9C9CFA FF015218
	v_mul_f32_dpp v79, v24, v79 row_newbcast:3 row_mask:0xf bank_mask:0xf// 000000005300: 0A9E9EFA FF015318
	v_cvt_f32_i32_e32 v80, v80                                 // 000000005308: 7EA00B50
	v_cvt_f32_i32_e32 v81, v81                                 // 00000000530C: 7EA20B51
	v_cvt_f32_i32_e32 v82, v82                                 // 000000005310: 7EA40B52
	v_cvt_f32_i32_e32 v83, v83                                 // 000000005314: 7EA60B53
	v_mul_f32_dpp v80, v24, v80 row_newbcast:0 row_mask:0xf bank_mask:0xf// 000000005318: 0AA0A0FA FF015018
	v_mul_f32_dpp v81, v24, v81 row_newbcast:1 row_mask:0xf bank_mask:0xf// 000000005320: 0AA2A2FA FF015118
	v_mul_f32_dpp v82, v24, v82 row_newbcast:2 row_mask:0xf bank_mask:0xf// 000000005328: 0AA4A4FA FF015218
	v_mul_f32_dpp v83, v24, v83 row_newbcast:3 row_mask:0xf bank_mask:0xf// 000000005330: 0AA6A6FA FF015318
	v_cvt_f32_i32_e32 v84, v84                                 // 000000005338: 7EA80B54
	v_cvt_f32_i32_e32 v85, v85                                 // 00000000533C: 7EAA0B55
	v_cvt_f32_i32_e32 v86, v86                                 // 000000005340: 7EAC0B56
	v_cvt_f32_i32_e32 v87, v87                                 // 000000005344: 7EAE0B57
	v_mul_f32_dpp v84, v24, v84 row_newbcast:0 row_mask:0xf bank_mask:0xf// 000000005348: 0AA8A8FA FF015018
	v_mul_f32_dpp v85, v24, v85 row_newbcast:1 row_mask:0xf bank_mask:0xf// 000000005350: 0AAAAAFA FF015118
	v_mul_f32_dpp v86, v24, v86 row_newbcast:2 row_mask:0xf bank_mask:0xf// 000000005358: 0AACACFA FF015218
	v_mul_f32_dpp v87, v24, v87 row_newbcast:3 row_mask:0xf bank_mask:0xf// 000000005360: 0AAEAEFA FF015318
	v_cvt_f32_i32_e32 v88, v88                                 // 000000005368: 7EB00B58
	v_cvt_f32_i32_e32 v89, v89                                 // 00000000536C: 7EB20B59
	v_cvt_f32_i32_e32 v90, v90                                 // 000000005370: 7EB40B5A
	v_cvt_f32_i32_e32 v91, v91                                 // 000000005374: 7EB60B5B
	v_mul_f32_dpp v88, v24, v88 row_newbcast:0 row_mask:0xf bank_mask:0xf// 000000005378: 0AB0B0FA FF015018
	v_mul_f32_dpp v89, v24, v89 row_newbcast:1 row_mask:0xf bank_mask:0xf// 000000005380: 0AB2B2FA FF015118
	v_mul_f32_dpp v90, v24, v90 row_newbcast:2 row_mask:0xf bank_mask:0xf// 000000005388: 0AB4B4FA FF015218
	v_mul_f32_dpp v91, v24, v91 row_newbcast:3 row_mask:0xf bank_mask:0xf// 000000005390: 0AB6B6FA FF015318
	v_cvt_f32_i32_e32 v92, v92                                 // 000000005398: 7EB80B5C
	v_cvt_f32_i32_e32 v93, v93                                 // 00000000539C: 7EBA0B5D
	v_cvt_f32_i32_e32 v94, v94                                 // 0000000053A0: 7EBC0B5E
	v_cvt_f32_i32_e32 v95, v95                                 // 0000000053A4: 7EBE0B5F
	v_mul_f32_dpp v92, v24, v92 row_newbcast:4 row_mask:0xf bank_mask:0xf// 0000000053A8: 0AB8B8FA FF015418
	v_mul_f32_dpp v93, v24, v93 row_newbcast:5 row_mask:0xf bank_mask:0xf// 0000000053B0: 0ABABAFA FF015518
	v_mul_f32_dpp v94, v24, v94 row_newbcast:6 row_mask:0xf bank_mask:0xf// 0000000053B8: 0ABCBCFA FF015618
	v_mul_f32_dpp v95, v24, v95 row_newbcast:7 row_mask:0xf bank_mask:0xf// 0000000053C0: 0ABEBEFA FF015718
	v_cvt_f32_i32_e32 v96, v96                                 // 0000000053C8: 7EC00B60
	v_cvt_f32_i32_e32 v97, v97                                 // 0000000053CC: 7EC20B61
	v_cvt_f32_i32_e32 v98, v98                                 // 0000000053D0: 7EC40B62
	v_cvt_f32_i32_e32 v99, v99                                 // 0000000053D4: 7EC60B63
	v_mul_f32_dpp v96, v24, v96 row_newbcast:4 row_mask:0xf bank_mask:0xf// 0000000053D8: 0AC0C0FA FF015418
	v_mul_f32_dpp v97, v24, v97 row_newbcast:5 row_mask:0xf bank_mask:0xf// 0000000053E0: 0AC2C2FA FF015518
	v_mul_f32_dpp v98, v24, v98 row_newbcast:6 row_mask:0xf bank_mask:0xf// 0000000053E8: 0AC4C4FA FF015618
	v_mul_f32_dpp v99, v24, v99 row_newbcast:7 row_mask:0xf bank_mask:0xf// 0000000053F0: 0AC6C6FA FF015718
	v_cvt_f32_i32_e32 v100, v100                               // 0000000053F8: 7EC80B64
	v_cvt_f32_i32_e32 v101, v101                               // 0000000053FC: 7ECA0B65
	v_cvt_f32_i32_e32 v102, v102                               // 000000005400: 7ECC0B66
	v_cvt_f32_i32_e32 v103, v103                               // 000000005404: 7ECE0B67
	v_mul_f32_dpp v100, v24, v100 row_newbcast:4 row_mask:0xf bank_mask:0xf// 000000005408: 0AC8C8FA FF015418
	v_mul_f32_dpp v101, v24, v101 row_newbcast:5 row_mask:0xf bank_mask:0xf// 000000005410: 0ACACAFA FF015518
	v_mul_f32_dpp v102, v24, v102 row_newbcast:6 row_mask:0xf bank_mask:0xf// 000000005418: 0ACCCCFA FF015618
	v_mul_f32_dpp v103, v24, v103 row_newbcast:7 row_mask:0xf bank_mask:0xf// 000000005420: 0ACECEFA FF015718
	v_cvt_f32_i32_e32 v104, v104                               // 000000005428: 7ED00B68
	v_cvt_f32_i32_e32 v105, v105                               // 00000000542C: 7ED20B69
	v_cvt_f32_i32_e32 v106, v106                               // 000000005430: 7ED40B6A
	v_cvt_f32_i32_e32 v107, v107                               // 000000005434: 7ED60B6B
	v_mul_f32_dpp v104, v24, v104 row_newbcast:4 row_mask:0xf bank_mask:0xf// 000000005438: 0AD0D0FA FF015418
	v_mul_f32_dpp v105, v24, v105 row_newbcast:5 row_mask:0xf bank_mask:0xf// 000000005440: 0AD2D2FA FF015518
	v_mul_f32_dpp v106, v24, v106 row_newbcast:6 row_mask:0xf bank_mask:0xf// 000000005448: 0AD4D4FA FF015618
	v_mul_f32_dpp v107, v24, v107 row_newbcast:7 row_mask:0xf bank_mask:0xf// 000000005450: 0AD6D6FA FF015718
	v_cvt_f32_i32_e32 v108, v108                               // 000000005458: 7ED80B6C
	v_cvt_f32_i32_e32 v109, v109                               // 00000000545C: 7EDA0B6D
	v_cvt_f32_i32_e32 v110, v110                               // 000000005460: 7EDC0B6E
	v_cvt_f32_i32_e32 v111, v111                               // 000000005464: 7EDE0B6F
	v_mul_f32_dpp v108, v24, v108 row_newbcast:4 row_mask:0xf bank_mask:0xf// 000000005468: 0AD8D8FA FF015418
	v_mul_f32_dpp v109, v24, v109 row_newbcast:5 row_mask:0xf bank_mask:0xf// 000000005470: 0ADADAFA FF015518
	v_mul_f32_dpp v110, v24, v110 row_newbcast:6 row_mask:0xf bank_mask:0xf// 000000005478: 0ADCDCFA FF015618
	v_mul_f32_dpp v111, v24, v111 row_newbcast:7 row_mask:0xf bank_mask:0xf// 000000005480: 0ADEDEFA FF015718
	v_cvt_f32_i32_e32 v112, v112                               // 000000005488: 7EE00B70
	v_cvt_f32_i32_e32 v113, v113                               // 00000000548C: 7EE20B71
	v_cvt_f32_i32_e32 v114, v114                               // 000000005490: 7EE40B72
	v_cvt_f32_i32_e32 v115, v115                               // 000000005494: 7EE60B73
	v_mul_f32_dpp v112, v24, v112 row_newbcast:4 row_mask:0xf bank_mask:0xf// 000000005498: 0AE0E0FA FF015418
	v_mul_f32_dpp v113, v24, v113 row_newbcast:5 row_mask:0xf bank_mask:0xf// 0000000054A0: 0AE2E2FA FF015518
	v_mul_f32_dpp v114, v24, v114 row_newbcast:6 row_mask:0xf bank_mask:0xf// 0000000054A8: 0AE4E4FA FF015618
	v_mul_f32_dpp v115, v24, v115 row_newbcast:7 row_mask:0xf bank_mask:0xf// 0000000054B0: 0AE6E6FA FF015718
	v_cvt_f32_i32_e32 v116, v116                               // 0000000054B8: 7EE80B74
	v_cvt_f32_i32_e32 v117, v117                               // 0000000054BC: 7EEA0B75
	v_cvt_f32_i32_e32 v118, v118                               // 0000000054C0: 7EEC0B76
	v_cvt_f32_i32_e32 v119, v119                               // 0000000054C4: 7EEE0B77
	v_mul_f32_dpp v116, v27, v116 row_newbcast:0 row_mask:0xf bank_mask:0xf// 0000000054C8: 0AE8E8FA FF01501B
	v_mul_f32_dpp v117, v27, v117 row_newbcast:1 row_mask:0xf bank_mask:0xf// 0000000054D0: 0AEAEAFA FF01511B
	v_mul_f32_dpp v118, v27, v118 row_newbcast:2 row_mask:0xf bank_mask:0xf// 0000000054D8: 0AECECFA FF01521B
	v_mul_f32_dpp v119, v27, v119 row_newbcast:3 row_mask:0xf bank_mask:0xf// 0000000054E0: 0AEEEEFA FF01531B
	v_cvt_f32_i32_e32 v120, v120                               // 0000000054E8: 7EF00B78
	v_cvt_f32_i32_e32 v121, v121                               // 0000000054EC: 7EF20B79
	v_cvt_f32_i32_e32 v122, v122                               // 0000000054F0: 7EF40B7A
	v_cvt_f32_i32_e32 v123, v123                               // 0000000054F4: 7EF60B7B
	v_mul_f32_dpp v120, v27, v120 row_newbcast:0 row_mask:0xf bank_mask:0xf// 0000000054F8: 0AF0F0FA FF01501B
	v_mul_f32_dpp v121, v27, v121 row_newbcast:1 row_mask:0xf bank_mask:0xf// 000000005500: 0AF2F2FA FF01511B
	v_mul_f32_dpp v122, v27, v122 row_newbcast:2 row_mask:0xf bank_mask:0xf// 000000005508: 0AF4F4FA FF01521B
	v_mul_f32_dpp v123, v27, v123 row_newbcast:3 row_mask:0xf bank_mask:0xf// 000000005510: 0AF6F6FA FF01531B
	v_cvt_f32_i32_e32 v124, v124                               // 000000005518: 7EF80B7C
	v_cvt_f32_i32_e32 v125, v125                               // 00000000551C: 7EFA0B7D
	v_cvt_f32_i32_e32 v126, v126                               // 000000005520: 7EFC0B7E
	v_cvt_f32_i32_e32 v127, v127                               // 000000005524: 7EFE0B7F
	v_mul_f32_dpp v124, v27, v124 row_newbcast:0 row_mask:0xf bank_mask:0xf// 000000005528: 0AF8F8FA FF01501B
	v_mul_f32_dpp v125, v27, v125 row_newbcast:1 row_mask:0xf bank_mask:0xf// 000000005530: 0AFAFAFA FF01511B
	v_mul_f32_dpp v126, v27, v126 row_newbcast:2 row_mask:0xf bank_mask:0xf// 000000005538: 0AFCFCFA FF01521B
	v_mul_f32_dpp v127, v27, v127 row_newbcast:3 row_mask:0xf bank_mask:0xf// 000000005540: 0AFEFEFA FF01531B
	v_cvt_f32_i32_e32 v128, v128                               // 000000005548: 7F000B80
	v_cvt_f32_i32_e32 v129, v129                               // 00000000554C: 7F020B81
	v_cvt_f32_i32_e32 v130, v130                               // 000000005550: 7F040B82
	v_cvt_f32_i32_e32 v131, v131                               // 000000005554: 7F060B83
	v_mul_f32_dpp v128, v27, v128 row_newbcast:0 row_mask:0xf bank_mask:0xf// 000000005558: 0B0100FA FF01501B
	v_mul_f32_dpp v129, v27, v129 row_newbcast:1 row_mask:0xf bank_mask:0xf// 000000005560: 0B0302FA FF01511B
	v_mul_f32_dpp v130, v27, v130 row_newbcast:2 row_mask:0xf bank_mask:0xf// 000000005568: 0B0504FA FF01521B
	v_mul_f32_dpp v131, v27, v131 row_newbcast:3 row_mask:0xf bank_mask:0xf// 000000005570: 0B0706FA FF01531B
	v_cvt_f32_i32_e32 v132, v132                               // 000000005578: 7F080B84
	v_cvt_f32_i32_e32 v133, v133                               // 00000000557C: 7F0A0B85
	v_cvt_f32_i32_e32 v134, v134                               // 000000005580: 7F0C0B86
	v_cvt_f32_i32_e32 v135, v135                               // 000000005584: 7F0E0B87
	v_mul_f32_dpp v132, v27, v132 row_newbcast:0 row_mask:0xf bank_mask:0xf// 000000005588: 0B0908FA FF01501B
	v_mul_f32_dpp v133, v27, v133 row_newbcast:1 row_mask:0xf bank_mask:0xf// 000000005590: 0B0B0AFA FF01511B
	v_mul_f32_dpp v134, v27, v134 row_newbcast:2 row_mask:0xf bank_mask:0xf// 000000005598: 0B0D0CFA FF01521B
	v_mul_f32_dpp v135, v27, v135 row_newbcast:3 row_mask:0xf bank_mask:0xf// 0000000055A0: 0B0F0EFA FF01531B
	v_cvt_f32_i32_e32 v136, v136                               // 0000000055A8: 7F100B88
	v_cvt_f32_i32_e32 v137, v137                               // 0000000055AC: 7F120B89
	v_cvt_f32_i32_e32 v138, v138                               // 0000000055B0: 7F140B8A
	v_cvt_f32_i32_e32 v139, v139                               // 0000000055B4: 7F160B8B
	v_mul_f32_dpp v136, v27, v136 row_newbcast:0 row_mask:0xf bank_mask:0xf// 0000000055B8: 0B1110FA FF01501B
	v_mul_f32_dpp v137, v27, v137 row_newbcast:1 row_mask:0xf bank_mask:0xf// 0000000055C0: 0B1312FA FF01511B
	v_mul_f32_dpp v138, v27, v138 row_newbcast:2 row_mask:0xf bank_mask:0xf// 0000000055C8: 0B1514FA FF01521B
	v_mul_f32_dpp v139, v27, v139 row_newbcast:3 row_mask:0xf bank_mask:0xf// 0000000055D0: 0B1716FA FF01531B
	v_cvt_f32_i32_e32 v140, v140                               // 0000000055D8: 7F180B8C
	v_cvt_f32_i32_e32 v141, v141                               // 0000000055DC: 7F1A0B8D
	v_cvt_f32_i32_e32 v142, v142                               // 0000000055E0: 7F1C0B8E
	v_cvt_f32_i32_e32 v143, v143                               // 0000000055E4: 7F1E0B8F
	v_mul_f32_dpp v140, v27, v140 row_newbcast:4 row_mask:0xf bank_mask:0xf// 0000000055E8: 0B1918FA FF01541B
	v_mul_f32_dpp v141, v27, v141 row_newbcast:5 row_mask:0xf bank_mask:0xf// 0000000055F0: 0B1B1AFA FF01551B
	v_mul_f32_dpp v142, v27, v142 row_newbcast:6 row_mask:0xf bank_mask:0xf// 0000000055F8: 0B1D1CFA FF01561B
	v_mul_f32_dpp v143, v27, v143 row_newbcast:7 row_mask:0xf bank_mask:0xf// 000000005600: 0B1F1EFA FF01571B
	v_cvt_f32_i32_e32 v144, v144                               // 000000005608: 7F200B90
	v_cvt_f32_i32_e32 v145, v145                               // 00000000560C: 7F220B91
	v_cvt_f32_i32_e32 v146, v146                               // 000000005610: 7F240B92
	v_cvt_f32_i32_e32 v147, v147                               // 000000005614: 7F260B93
	v_mul_f32_dpp v144, v27, v144 row_newbcast:4 row_mask:0xf bank_mask:0xf// 000000005618: 0B2120FA FF01541B
	v_mul_f32_dpp v145, v27, v145 row_newbcast:5 row_mask:0xf bank_mask:0xf// 000000005620: 0B2322FA FF01551B
	v_mul_f32_dpp v146, v27, v146 row_newbcast:6 row_mask:0xf bank_mask:0xf// 000000005628: 0B2524FA FF01561B
	v_mul_f32_dpp v147, v27, v147 row_newbcast:7 row_mask:0xf bank_mask:0xf// 000000005630: 0B2726FA FF01571B
	v_cvt_f32_i32_e32 v148, v148                               // 000000005638: 7F280B94
	v_cvt_f32_i32_e32 v149, v149                               // 00000000563C: 7F2A0B95
	v_cvt_f32_i32_e32 v150, v150                               // 000000005640: 7F2C0B96
	v_cvt_f32_i32_e32 v151, v151                               // 000000005644: 7F2E0B97
	v_mul_f32_dpp v148, v27, v148 row_newbcast:4 row_mask:0xf bank_mask:0xf// 000000005648: 0B2928FA FF01541B
	v_mul_f32_dpp v149, v27, v149 row_newbcast:5 row_mask:0xf bank_mask:0xf// 000000005650: 0B2B2AFA FF01551B
	v_mul_f32_dpp v150, v27, v150 row_newbcast:6 row_mask:0xf bank_mask:0xf// 000000005658: 0B2D2CFA FF01561B
	v_mul_f32_dpp v151, v27, v151 row_newbcast:7 row_mask:0xf bank_mask:0xf// 000000005660: 0B2F2EFA FF01571B
	v_cvt_f32_i32_e32 v152, v152                               // 000000005668: 7F300B98
	v_cvt_f32_i32_e32 v153, v153                               // 00000000566C: 7F320B99
	v_cvt_f32_i32_e32 v154, v154                               // 000000005670: 7F340B9A
	v_cvt_f32_i32_e32 v155, v155                               // 000000005674: 7F360B9B
	v_mul_f32_dpp v152, v27, v152 row_newbcast:4 row_mask:0xf bank_mask:0xf// 000000005678: 0B3130FA FF01541B
	v_mul_f32_dpp v153, v27, v153 row_newbcast:5 row_mask:0xf bank_mask:0xf// 000000005680: 0B3332FA FF01551B
	v_mul_f32_dpp v154, v27, v154 row_newbcast:6 row_mask:0xf bank_mask:0xf// 000000005688: 0B3534FA FF01561B
	v_mul_f32_dpp v155, v27, v155 row_newbcast:7 row_mask:0xf bank_mask:0xf// 000000005690: 0B3736FA FF01571B
	v_cvt_f32_i32_e32 v156, v156                               // 000000005698: 7F380B9C
	v_cvt_f32_i32_e32 v157, v157                               // 00000000569C: 7F3A0B9D
	v_cvt_f32_i32_e32 v158, v158                               // 0000000056A0: 7F3C0B9E
	v_cvt_f32_i32_e32 v159, v159                               // 0000000056A4: 7F3E0B9F
	v_mul_f32_dpp v156, v27, v156 row_newbcast:4 row_mask:0xf bank_mask:0xf// 0000000056A8: 0B3938FA FF01541B
	v_mul_f32_dpp v157, v27, v157 row_newbcast:5 row_mask:0xf bank_mask:0xf// 0000000056B0: 0B3B3AFA FF01551B
	v_mul_f32_dpp v158, v27, v158 row_newbcast:6 row_mask:0xf bank_mask:0xf// 0000000056B8: 0B3D3CFA FF01561B
	v_mul_f32_dpp v159, v27, v159 row_newbcast:7 row_mask:0xf bank_mask:0xf// 0000000056C0: 0B3F3EFA FF01571B
	v_cvt_f32_i32_e32 v160, v160                               // 0000000056C8: 7F400BA0
	v_cvt_f32_i32_e32 v161, v161                               // 0000000056CC: 7F420BA1
	v_cvt_f32_i32_e32 v162, v162                               // 0000000056D0: 7F440BA2
	v_cvt_f32_i32_e32 v163, v163                               // 0000000056D4: 7F460BA3
	v_mul_f32_dpp v160, v27, v160 row_newbcast:4 row_mask:0xf bank_mask:0xf// 0000000056D8: 0B4140FA FF01541B
	v_mul_f32_dpp v161, v27, v161 row_newbcast:5 row_mask:0xf bank_mask:0xf// 0000000056E0: 0B4342FA FF01551B
	v_mul_f32_dpp v162, v27, v162 row_newbcast:6 row_mask:0xf bank_mask:0xf// 0000000056E8: 0B4544FA FF01561B
	v_mul_f32_dpp v163, v27, v163 row_newbcast:7 row_mask:0xf bank_mask:0xf// 0000000056F0: 0B4746FA FF01571B
	v_mov_b32_e32 v4, v36                                      // 0000000056F8: 7E080324
	v_mov_b32_e32 v5, v4                                       // 0000000056FC: 7E0A0304
	v_pk_mul_f32 v[68:69], v[4:5], v[68:69]                    // 000000005700: D3B14044 18028904
	v_pk_mul_f32 v[116:117], v[4:5], v[116:117]                // 000000005708: D3B14074 1802E904
	v_pk_mul_f32 v[70:71], v[4:5], v[70:71]                    // 000000005710: D3B14046 18028D04
	v_pk_mul_f32 v[118:119], v[4:5], v[118:119]                // 000000005718: D3B14076 1802ED04
	v_pk_mul_f32 v[92:93], v[4:5], v[92:93]                    // 000000005720: D3B1405C 1802B904
	v_pk_mul_f32 v[140:141], v[4:5], v[140:141]                // 000000005728: D3B1408C 18031904
	v_pk_mul_f32 v[94:95], v[4:5], v[94:95]                    // 000000005730: D3B1405E 1802BD04
	v_pk_mul_f32 v[142:143], v[4:5], v[142:143]                // 000000005738: D3B1408E 18031D04
	v_mov_b32_e32 v4, v37                                      // 000000005740: 7E080325
	v_mov_b32_e32 v5, v4                                       // 000000005744: 7E0A0304
	v_pk_mul_f32 v[72:73], v[4:5], v[72:73]                    // 000000005748: D3B14048 18029104
	v_pk_mul_f32 v[120:121], v[4:5], v[120:121]                // 000000005750: D3B14078 1802F104
	v_pk_mul_f32 v[74:75], v[4:5], v[74:75]                    // 000000005758: D3B1404A 18029504
	v_pk_mul_f32 v[122:123], v[4:5], v[122:123]                // 000000005760: D3B1407A 1802F504
	v_pk_mul_f32 v[96:97], v[4:5], v[96:97]                    // 000000005768: D3B14060 1802C104
	v_pk_mul_f32 v[144:145], v[4:5], v[144:145]                // 000000005770: D3B14090 18032104
	v_pk_mul_f32 v[98:99], v[4:5], v[98:99]                    // 000000005778: D3B14062 1802C504
	v_pk_mul_f32 v[146:147], v[4:5], v[146:147]                // 000000005780: D3B14092 18032504
	v_mov_b32_e32 v4, v38                                      // 000000005788: 7E080326
	v_mov_b32_e32 v5, v4                                       // 00000000578C: 7E0A0304
	v_pk_mul_f32 v[76:77], v[4:5], v[76:77]                    // 000000005790: D3B1404C 18029904
	v_pk_mul_f32 v[124:125], v[4:5], v[124:125]                // 000000005798: D3B1407C 1802F904
	v_pk_mul_f32 v[78:79], v[4:5], v[78:79]                    // 0000000057A0: D3B1404E 18029D04
	v_pk_mul_f32 v[126:127], v[4:5], v[126:127]                // 0000000057A8: D3B1407E 1802FD04
	v_pk_mul_f32 v[100:101], v[4:5], v[100:101]                // 0000000057B0: D3B14064 1802C904
	v_pk_mul_f32 v[148:149], v[4:5], v[148:149]                // 0000000057B8: D3B14094 18032904
	v_pk_mul_f32 v[102:103], v[4:5], v[102:103]                // 0000000057C0: D3B14066 1802CD04
	v_pk_mul_f32 v[150:151], v[4:5], v[150:151]                // 0000000057C8: D3B14096 18032D04
	v_mov_b32_e32 v4, v39                                      // 0000000057D0: 7E080327
	v_mov_b32_e32 v5, v4                                       // 0000000057D4: 7E0A0304
	v_pk_mul_f32 v[80:81], v[4:5], v[80:81]                    // 0000000057D8: D3B14050 1802A104
	v_pk_mul_f32 v[128:129], v[4:5], v[128:129]                // 0000000057E0: D3B14080 18030104
	v_pk_mul_f32 v[82:83], v[4:5], v[82:83]                    // 0000000057E8: D3B14052 1802A504
	v_pk_mul_f32 v[130:131], v[4:5], v[130:131]                // 0000000057F0: D3B14082 18030504
	v_pk_mul_f32 v[104:105], v[4:5], v[104:105]                // 0000000057F8: D3B14068 1802D104
	v_pk_mul_f32 v[152:153], v[4:5], v[152:153]                // 000000005800: D3B14098 18033104
	v_pk_mul_f32 v[106:107], v[4:5], v[106:107]                // 000000005808: D3B1406A 1802D504
	v_pk_mul_f32 v[154:155], v[4:5], v[154:155]                // 000000005810: D3B1409A 18033504
	v_mov_b32_e32 v4, v40                                      // 000000005818: 7E080328
	v_mov_b32_e32 v5, v4                                       // 00000000581C: 7E0A0304
	v_pk_mul_f32 v[84:85], v[4:5], v[84:85]                    // 000000005820: D3B14054 1802A904
	v_pk_mul_f32 v[132:133], v[4:5], v[132:133]                // 000000005828: D3B14084 18030904
	v_pk_mul_f32 v[86:87], v[4:5], v[86:87]                    // 000000005830: D3B14056 1802AD04
	v_pk_mul_f32 v[134:135], v[4:5], v[134:135]                // 000000005838: D3B14086 18030D04
	v_pk_mul_f32 v[108:109], v[4:5], v[108:109]                // 000000005840: D3B1406C 1802D904
	v_pk_mul_f32 v[156:157], v[4:5], v[156:157]                // 000000005848: D3B1409C 18033904
	v_pk_mul_f32 v[110:111], v[4:5], v[110:111]                // 000000005850: D3B1406E 1802DD04
	v_pk_mul_f32 v[158:159], v[4:5], v[158:159]                // 000000005858: D3B1409E 18033D04
	v_mov_b32_e32 v4, v41                                      // 000000005860: 7E080329
	v_mov_b32_e32 v5, v4                                       // 000000005864: 7E0A0304
	v_pk_mul_f32 v[88:89], v[4:5], v[88:89]                    // 000000005868: D3B14058 1802B104
	v_pk_mul_f32 v[136:137], v[4:5], v[136:137]                // 000000005870: D3B14088 18031104
	v_pk_mul_f32 v[90:91], v[4:5], v[90:91]                    // 000000005878: D3B1405A 1802B504
	v_pk_mul_f32 v[138:139], v[4:5], v[138:139]                // 000000005880: D3B1408A 18031504
	v_pk_mul_f32 v[112:113], v[4:5], v[112:113]                // 000000005888: D3B14070 1802E104
	v_pk_mul_f32 v[160:161], v[4:5], v[160:161]                // 000000005890: D3B140A0 18034104
	v_pk_mul_f32 v[114:115], v[4:5], v[114:115]                // 000000005898: D3B14072 1802E504
	v_pk_mul_f32 v[162:163], v[4:5], v[162:163]                // 0000000058A0: D3B140A2 18034504
	s_cmp_eq_u32 s88, 0                                        // 0000000058A8: BF068058
	s_cbranch_scc0 label_12BD                                  // 0000000058AC: BF840711
	s_cmp_eq_u32 s89, 0                                        // 0000000058B0: BF068059
	s_cbranch_scc1 label_0D93                                  // 0000000058B4: BF8501E5
	v_mov_b32_e32 v8, v1                                       // 0000000058B8: 7E100301
	v_mov_b32_e32 v9, v1                                       // 0000000058BC: 7E120301
	s_mov_b32 s60, s6                                          // 0000000058C0: BEBC0006
	s_mov_b32 s61, s6                                          // 0000000058C4: BEBD0006
	v_pk_mul_f32 v[4:5], v[68:69], v[68:69]                    // 0000000058C8: D3B14004 18028944
	v_pk_mul_f32 v[6:7], v[70:71], v[70:71]                    // 0000000058D0: D3B14006 18028D46
	v_pk_fma_f32 v[4:5], v[4:5], s[78:79], v[8:9]              // 0000000058D8: D3B04004 1C209D04
	v_pk_fma_f32 v[6:7], v[6:7], s[78:79], v[8:9]              // 0000000058E0: D3B04006 1C209D06
	v_pk_mul_f32 v[4:5], v[4:5], v[68:69]                      // 0000000058E8: D3B14004 18028904
	v_pk_mul_f32 v[6:7], v[6:7], v[70:71]                      // 0000000058F0: D3B14006 18028D06
	v_pk_mul_f32 v[4:5], v[4:5], s[60:61]                      // 0000000058F8: D3B14004 18007904
	v_pk_mul_f32 v[6:7], v[6:7], s[60:61]                      // 000000005900: D3B14006 18007906
	v_exp_f32_e32 v4, v4                                       // 000000005908: 7E084104
	v_exp_f32_e32 v5, v5                                       // 00000000590C: 7E0A4105
	v_exp_f32_e32 v6, v6                                       // 000000005910: 7E0C4106
	v_exp_f32_e32 v7, v7                                       // 000000005914: 7E0E4107
	v_add_f32_e64 v4, v4, 1.0                                  // 000000005918: D1010004 0001E504
	v_add_f32_e64 v5, v5, 1.0                                  // 000000005920: D1010005 0001E505
	v_add_f32_e64 v6, v6, 1.0                                  // 000000005928: D1010006 0001E506
	v_add_f32_e64 v7, v7, 1.0                                  // 000000005930: D1010007 0001E507
	v_rcp_f32_e32 v4, v4                                       // 000000005938: 7E084504
	v_rcp_f32_e32 v5, v5                                       // 00000000593C: 7E0A4505
	v_rcp_f32_e32 v6, v6                                       // 000000005940: 7E0C4506
	v_rcp_f32_e32 v7, v7                                       // 000000005944: 7E0E4507
	v_mul_f32_e32 v68, v68, v4                                 // 000000005948: 0A880944
	v_mul_f32_e32 v69, v69, v5                                 // 00000000594C: 0A8A0B45
	v_mul_f32_e32 v70, v70, v6                                 // 000000005950: 0A8C0D46
	v_mul_f32_e32 v71, v71, v7                                 // 000000005954: 0A8E0F47
	v_mul_f32_e32 v68, v68, v116                               // 000000005958: 0A88E944
	v_mul_f32_e32 v69, v69, v117                               // 00000000595C: 0A8AEB45
	v_mul_f32_e32 v70, v70, v118                               // 000000005960: 0A8CED46
	v_mul_f32_e32 v71, v71, v119                               // 000000005964: 0A8EEF47
	v_pk_mul_f32 v[4:5], v[72:73], v[72:73]                    // 000000005968: D3B14004 18029148
	v_pk_mul_f32 v[6:7], v[74:75], v[74:75]                    // 000000005970: D3B14006 1802954A
	v_pk_fma_f32 v[4:5], v[4:5], s[78:79], v[8:9]              // 000000005978: D3B04004 1C209D04
	v_pk_fma_f32 v[6:7], v[6:7], s[78:79], v[8:9]              // 000000005980: D3B04006 1C209D06
	v_pk_mul_f32 v[4:5], v[4:5], v[72:73]                      // 000000005988: D3B14004 18029104
	v_pk_mul_f32 v[6:7], v[6:7], v[74:75]                      // 000000005990: D3B14006 18029506
	v_pk_mul_f32 v[4:5], v[4:5], s[60:61]                      // 000000005998: D3B14004 18007904
	v_pk_mul_f32 v[6:7], v[6:7], s[60:61]                      // 0000000059A0: D3B14006 18007906
	v_exp_f32_e32 v4, v4                                       // 0000000059A8: 7E084104
	v_exp_f32_e32 v5, v5                                       // 0000000059AC: 7E0A4105
	v_exp_f32_e32 v6, v6                                       // 0000000059B0: 7E0C4106
	v_exp_f32_e32 v7, v7                                       // 0000000059B4: 7E0E4107
	v_add_f32_e64 v4, v4, 1.0                                  // 0000000059B8: D1010004 0001E504
	v_add_f32_e64 v5, v5, 1.0                                  // 0000000059C0: D1010005 0001E505
	v_add_f32_e64 v6, v6, 1.0                                  // 0000000059C8: D1010006 0001E506
	v_add_f32_e64 v7, v7, 1.0                                  // 0000000059D0: D1010007 0001E507
	v_rcp_f32_e32 v4, v4                                       // 0000000059D8: 7E084504
	v_rcp_f32_e32 v5, v5                                       // 0000000059DC: 7E0A4505
	v_rcp_f32_e32 v6, v6                                       // 0000000059E0: 7E0C4506
	v_rcp_f32_e32 v7, v7                                       // 0000000059E4: 7E0E4507
	v_mul_f32_e32 v72, v72, v4                                 // 0000000059E8: 0A900948
	v_mul_f32_e32 v73, v73, v5                                 // 0000000059EC: 0A920B49
	v_mul_f32_e32 v74, v74, v6                                 // 0000000059F0: 0A940D4A
	v_mul_f32_e32 v75, v75, v7                                 // 0000000059F4: 0A960F4B
	v_mul_f32_e32 v72, v72, v120                               // 0000000059F8: 0A90F148
	v_mul_f32_e32 v73, v73, v121                               // 0000000059FC: 0A92F349
	v_mul_f32_e32 v74, v74, v122                               // 000000005A00: 0A94F54A
	v_mul_f32_e32 v75, v75, v123                               // 000000005A04: 0A96F74B
	v_pk_mul_f32 v[4:5], v[76:77], v[76:77]                    // 000000005A08: D3B14004 1802994C
	v_pk_mul_f32 v[6:7], v[78:79], v[78:79]                    // 000000005A10: D3B14006 18029D4E
	v_pk_fma_f32 v[4:5], v[4:5], s[78:79], v[8:9]              // 000000005A18: D3B04004 1C209D04
	v_pk_fma_f32 v[6:7], v[6:7], s[78:79], v[8:9]              // 000000005A20: D3B04006 1C209D06
	v_pk_mul_f32 v[4:5], v[4:5], v[76:77]                      // 000000005A28: D3B14004 18029904
	v_pk_mul_f32 v[6:7], v[6:7], v[78:79]                      // 000000005A30: D3B14006 18029D06
	v_pk_mul_f32 v[4:5], v[4:5], s[60:61]                      // 000000005A38: D3B14004 18007904
	v_pk_mul_f32 v[6:7], v[6:7], s[60:61]                      // 000000005A40: D3B14006 18007906
	v_exp_f32_e32 v4, v4                                       // 000000005A48: 7E084104
	v_exp_f32_e32 v5, v5                                       // 000000005A4C: 7E0A4105
	v_exp_f32_e32 v6, v6                                       // 000000005A50: 7E0C4106
	v_exp_f32_e32 v7, v7                                       // 000000005A54: 7E0E4107
	v_add_f32_e64 v4, v4, 1.0                                  // 000000005A58: D1010004 0001E504
	v_add_f32_e64 v5, v5, 1.0                                  // 000000005A60: D1010005 0001E505
	v_add_f32_e64 v6, v6, 1.0                                  // 000000005A68: D1010006 0001E506
	v_add_f32_e64 v7, v7, 1.0                                  // 000000005A70: D1010007 0001E507
	v_rcp_f32_e32 v4, v4                                       // 000000005A78: 7E084504
	v_rcp_f32_e32 v5, v5                                       // 000000005A7C: 7E0A4505
	v_rcp_f32_e32 v6, v6                                       // 000000005A80: 7E0C4506
	v_rcp_f32_e32 v7, v7                                       // 000000005A84: 7E0E4507
	v_mul_f32_e32 v76, v76, v4                                 // 000000005A88: 0A98094C
	v_mul_f32_e32 v77, v77, v5                                 // 000000005A8C: 0A9A0B4D
	v_mul_f32_e32 v78, v78, v6                                 // 000000005A90: 0A9C0D4E
	v_mul_f32_e32 v79, v79, v7                                 // 000000005A94: 0A9E0F4F
	v_mul_f32_e32 v76, v76, v124                               // 000000005A98: 0A98F94C
	v_mul_f32_e32 v77, v77, v125                               // 000000005A9C: 0A9AFB4D
	v_mul_f32_e32 v78, v78, v126                               // 000000005AA0: 0A9CFD4E
	v_mul_f32_e32 v79, v79, v127                               // 000000005AA4: 0A9EFF4F
	v_pk_mul_f32 v[4:5], v[80:81], v[80:81]                    // 000000005AA8: D3B14004 1802A150
	v_pk_mul_f32 v[6:7], v[82:83], v[82:83]                    // 000000005AB0: D3B14006 1802A552
	v_pk_fma_f32 v[4:5], v[4:5], s[78:79], v[8:9]              // 000000005AB8: D3B04004 1C209D04
	v_pk_fma_f32 v[6:7], v[6:7], s[78:79], v[8:9]              // 000000005AC0: D3B04006 1C209D06
	v_pk_mul_f32 v[4:5], v[4:5], v[80:81]                      // 000000005AC8: D3B14004 1802A104
	v_pk_mul_f32 v[6:7], v[6:7], v[82:83]                      // 000000005AD0: D3B14006 1802A506
	v_pk_mul_f32 v[4:5], v[4:5], s[60:61]                      // 000000005AD8: D3B14004 18007904
	v_pk_mul_f32 v[6:7], v[6:7], s[60:61]                      // 000000005AE0: D3B14006 18007906
	v_exp_f32_e32 v4, v4                                       // 000000005AE8: 7E084104
	v_exp_f32_e32 v5, v5                                       // 000000005AEC: 7E0A4105
	v_exp_f32_e32 v6, v6                                       // 000000005AF0: 7E0C4106
	v_exp_f32_e32 v7, v7                                       // 000000005AF4: 7E0E4107
	v_add_f32_e64 v4, v4, 1.0                                  // 000000005AF8: D1010004 0001E504
	v_add_f32_e64 v5, v5, 1.0                                  // 000000005B00: D1010005 0001E505
	v_add_f32_e64 v6, v6, 1.0                                  // 000000005B08: D1010006 0001E506
	v_add_f32_e64 v7, v7, 1.0                                  // 000000005B10: D1010007 0001E507
	v_rcp_f32_e32 v4, v4                                       // 000000005B18: 7E084504
	v_rcp_f32_e32 v5, v5                                       // 000000005B1C: 7E0A4505
	v_rcp_f32_e32 v6, v6                                       // 000000005B20: 7E0C4506
	v_rcp_f32_e32 v7, v7                                       // 000000005B24: 7E0E4507
	v_mul_f32_e32 v80, v80, v4                                 // 000000005B28: 0AA00950
	v_mul_f32_e32 v81, v81, v5                                 // 000000005B2C: 0AA20B51
	v_mul_f32_e32 v82, v82, v6                                 // 000000005B30: 0AA40D52
	v_mul_f32_e32 v83, v83, v7                                 // 000000005B34: 0AA60F53
	v_mul_f32_e32 v80, v80, v128                               // 000000005B38: 0AA10150
	v_mul_f32_e32 v81, v81, v129                               // 000000005B3C: 0AA30351
	v_mul_f32_e32 v82, v82, v130                               // 000000005B40: 0AA50552
	v_mul_f32_e32 v83, v83, v131                               // 000000005B44: 0AA70753
	v_pk_mul_f32 v[4:5], v[84:85], v[84:85]                    // 000000005B48: D3B14004 1802A954
	v_pk_mul_f32 v[6:7], v[86:87], v[86:87]                    // 000000005B50: D3B14006 1802AD56
	v_pk_fma_f32 v[4:5], v[4:5], s[78:79], v[8:9]              // 000000005B58: D3B04004 1C209D04
	v_pk_fma_f32 v[6:7], v[6:7], s[78:79], v[8:9]              // 000000005B60: D3B04006 1C209D06
	v_pk_mul_f32 v[4:5], v[4:5], v[84:85]                      // 000000005B68: D3B14004 1802A904
	v_pk_mul_f32 v[6:7], v[6:7], v[86:87]                      // 000000005B70: D3B14006 1802AD06
	v_pk_mul_f32 v[4:5], v[4:5], s[60:61]                      // 000000005B78: D3B14004 18007904
	v_pk_mul_f32 v[6:7], v[6:7], s[60:61]                      // 000000005B80: D3B14006 18007906
	v_exp_f32_e32 v4, v4                                       // 000000005B88: 7E084104
	v_exp_f32_e32 v5, v5                                       // 000000005B8C: 7E0A4105
	v_exp_f32_e32 v6, v6                                       // 000000005B90: 7E0C4106
	v_exp_f32_e32 v7, v7                                       // 000000005B94: 7E0E4107
	v_add_f32_e64 v4, v4, 1.0                                  // 000000005B98: D1010004 0001E504
	v_add_f32_e64 v5, v5, 1.0                                  // 000000005BA0: D1010005 0001E505
	v_add_f32_e64 v6, v6, 1.0                                  // 000000005BA8: D1010006 0001E506
	v_add_f32_e64 v7, v7, 1.0                                  // 000000005BB0: D1010007 0001E507
	v_rcp_f32_e32 v4, v4                                       // 000000005BB8: 7E084504
	v_rcp_f32_e32 v5, v5                                       // 000000005BBC: 7E0A4505
	v_rcp_f32_e32 v6, v6                                       // 000000005BC0: 7E0C4506
	v_rcp_f32_e32 v7, v7                                       // 000000005BC4: 7E0E4507
	v_mul_f32_e32 v84, v84, v4                                 // 000000005BC8: 0AA80954
	v_mul_f32_e32 v85, v85, v5                                 // 000000005BCC: 0AAA0B55
	v_mul_f32_e32 v86, v86, v6                                 // 000000005BD0: 0AAC0D56
	v_mul_f32_e32 v87, v87, v7                                 // 000000005BD4: 0AAE0F57
	v_mul_f32_e32 v84, v84, v132                               // 000000005BD8: 0AA90954
	v_mul_f32_e32 v85, v85, v133                               // 000000005BDC: 0AAB0B55
	v_mul_f32_e32 v86, v86, v134                               // 000000005BE0: 0AAD0D56
	v_mul_f32_e32 v87, v87, v135                               // 000000005BE4: 0AAF0F57
	v_pk_mul_f32 v[4:5], v[88:89], v[88:89]                    // 000000005BE8: D3B14004 1802B158
	v_pk_mul_f32 v[6:7], v[90:91], v[90:91]                    // 000000005BF0: D3B14006 1802B55A
	v_pk_fma_f32 v[4:5], v[4:5], s[78:79], v[8:9]              // 000000005BF8: D3B04004 1C209D04
	v_pk_fma_f32 v[6:7], v[6:7], s[78:79], v[8:9]              // 000000005C00: D3B04006 1C209D06
	v_pk_mul_f32 v[4:5], v[4:5], v[88:89]                      // 000000005C08: D3B14004 1802B104
	v_pk_mul_f32 v[6:7], v[6:7], v[90:91]                      // 000000005C10: D3B14006 1802B506
	v_pk_mul_f32 v[4:5], v[4:5], s[60:61]                      // 000000005C18: D3B14004 18007904
	v_pk_mul_f32 v[6:7], v[6:7], s[60:61]                      // 000000005C20: D3B14006 18007906
	v_exp_f32_e32 v4, v4                                       // 000000005C28: 7E084104
	v_exp_f32_e32 v5, v5                                       // 000000005C2C: 7E0A4105
	v_exp_f32_e32 v6, v6                                       // 000000005C30: 7E0C4106
	v_exp_f32_e32 v7, v7                                       // 000000005C34: 7E0E4107
	v_add_f32_e64 v4, v4, 1.0                                  // 000000005C38: D1010004 0001E504
	v_add_f32_e64 v5, v5, 1.0                                  // 000000005C40: D1010005 0001E505
	v_add_f32_e64 v6, v6, 1.0                                  // 000000005C48: D1010006 0001E506
	v_add_f32_e64 v7, v7, 1.0                                  // 000000005C50: D1010007 0001E507
	v_rcp_f32_e32 v4, v4                                       // 000000005C58: 7E084504
	v_rcp_f32_e32 v5, v5                                       // 000000005C5C: 7E0A4505
	v_rcp_f32_e32 v6, v6                                       // 000000005C60: 7E0C4506
	v_rcp_f32_e32 v7, v7                                       // 000000005C64: 7E0E4507
	v_mul_f32_e32 v88, v88, v4                                 // 000000005C68: 0AB00958
	v_mul_f32_e32 v89, v89, v5                                 // 000000005C6C: 0AB20B59
	v_mul_f32_e32 v90, v90, v6                                 // 000000005C70: 0AB40D5A
	v_mul_f32_e32 v91, v91, v7                                 // 000000005C74: 0AB60F5B
	v_mul_f32_e32 v88, v88, v136                               // 000000005C78: 0AB11158
	v_mul_f32_e32 v89, v89, v137                               // 000000005C7C: 0AB31359
	v_mul_f32_e32 v90, v90, v138                               // 000000005C80: 0AB5155A
	v_mul_f32_e32 v91, v91, v139                               // 000000005C84: 0AB7175B
	v_pk_mul_f32 v[4:5], v[92:93], v[92:93]                    // 000000005C88: D3B14004 1802B95C
	v_pk_mul_f32 v[6:7], v[94:95], v[94:95]                    // 000000005C90: D3B14006 1802BD5E
	v_pk_fma_f32 v[4:5], v[4:5], s[78:79], v[8:9]              // 000000005C98: D3B04004 1C209D04
	v_pk_fma_f32 v[6:7], v[6:7], s[78:79], v[8:9]              // 000000005CA0: D3B04006 1C209D06
	v_pk_mul_f32 v[4:5], v[4:5], v[92:93]                      // 000000005CA8: D3B14004 1802B904
	v_pk_mul_f32 v[6:7], v[6:7], v[94:95]                      // 000000005CB0: D3B14006 1802BD06
	v_pk_mul_f32 v[4:5], v[4:5], s[60:61]                      // 000000005CB8: D3B14004 18007904
	v_pk_mul_f32 v[6:7], v[6:7], s[60:61]                      // 000000005CC0: D3B14006 18007906
	v_exp_f32_e32 v4, v4                                       // 000000005CC8: 7E084104
	v_exp_f32_e32 v5, v5                                       // 000000005CCC: 7E0A4105
	v_exp_f32_e32 v6, v6                                       // 000000005CD0: 7E0C4106
	v_exp_f32_e32 v7, v7                                       // 000000005CD4: 7E0E4107
	v_add_f32_e64 v4, v4, 1.0                                  // 000000005CD8: D1010004 0001E504
	v_add_f32_e64 v5, v5, 1.0                                  // 000000005CE0: D1010005 0001E505
	v_add_f32_e64 v6, v6, 1.0                                  // 000000005CE8: D1010006 0001E506
	v_add_f32_e64 v7, v7, 1.0                                  // 000000005CF0: D1010007 0001E507
	v_rcp_f32_e32 v4, v4                                       // 000000005CF8: 7E084504
	v_rcp_f32_e32 v5, v5                                       // 000000005CFC: 7E0A4505
	v_rcp_f32_e32 v6, v6                                       // 000000005D00: 7E0C4506
	v_rcp_f32_e32 v7, v7                                       // 000000005D04: 7E0E4507
	v_mul_f32_e32 v92, v92, v4                                 // 000000005D08: 0AB8095C
	v_mul_f32_e32 v93, v93, v5                                 // 000000005D0C: 0ABA0B5D
	v_mul_f32_e32 v94, v94, v6                                 // 000000005D10: 0ABC0D5E
	v_mul_f32_e32 v95, v95, v7                                 // 000000005D14: 0ABE0F5F
	v_mul_f32_e32 v92, v92, v140                               // 000000005D18: 0AB9195C
	v_mul_f32_e32 v93, v93, v141                               // 000000005D1C: 0ABB1B5D
	v_mul_f32_e32 v94, v94, v142                               // 000000005D20: 0ABD1D5E
	v_mul_f32_e32 v95, v95, v143                               // 000000005D24: 0ABF1F5F
	v_pk_mul_f32 v[4:5], v[96:97], v[96:97]                    // 000000005D28: D3B14004 1802C160
	v_pk_mul_f32 v[6:7], v[98:99], v[98:99]                    // 000000005D30: D3B14006 1802C562
	v_pk_fma_f32 v[4:5], v[4:5], s[78:79], v[8:9]              // 000000005D38: D3B04004 1C209D04
	v_pk_fma_f32 v[6:7], v[6:7], s[78:79], v[8:9]              // 000000005D40: D3B04006 1C209D06
	v_pk_mul_f32 v[4:5], v[4:5], v[96:97]                      // 000000005D48: D3B14004 1802C104
	v_pk_mul_f32 v[6:7], v[6:7], v[98:99]                      // 000000005D50: D3B14006 1802C506
	v_pk_mul_f32 v[4:5], v[4:5], s[60:61]                      // 000000005D58: D3B14004 18007904
	v_pk_mul_f32 v[6:7], v[6:7], s[60:61]                      // 000000005D60: D3B14006 18007906
	v_exp_f32_e32 v4, v4                                       // 000000005D68: 7E084104
	v_exp_f32_e32 v5, v5                                       // 000000005D6C: 7E0A4105
	v_exp_f32_e32 v6, v6                                       // 000000005D70: 7E0C4106
	v_exp_f32_e32 v7, v7                                       // 000000005D74: 7E0E4107
	v_add_f32_e64 v4, v4, 1.0                                  // 000000005D78: D1010004 0001E504
	v_add_f32_e64 v5, v5, 1.0                                  // 000000005D80: D1010005 0001E505
	v_add_f32_e64 v6, v6, 1.0                                  // 000000005D88: D1010006 0001E506
	v_add_f32_e64 v7, v7, 1.0                                  // 000000005D90: D1010007 0001E507
	v_rcp_f32_e32 v4, v4                                       // 000000005D98: 7E084504
	v_rcp_f32_e32 v5, v5                                       // 000000005D9C: 7E0A4505
	v_rcp_f32_e32 v6, v6                                       // 000000005DA0: 7E0C4506
	v_rcp_f32_e32 v7, v7                                       // 000000005DA4: 7E0E4507
	v_mul_f32_e32 v96, v96, v4                                 // 000000005DA8: 0AC00960
	v_mul_f32_e32 v97, v97, v5                                 // 000000005DAC: 0AC20B61
	v_mul_f32_e32 v98, v98, v6                                 // 000000005DB0: 0AC40D62
	v_mul_f32_e32 v99, v99, v7                                 // 000000005DB4: 0AC60F63
	v_mul_f32_e32 v96, v96, v144                               // 000000005DB8: 0AC12160
	v_mul_f32_e32 v97, v97, v145                               // 000000005DBC: 0AC32361
	v_mul_f32_e32 v98, v98, v146                               // 000000005DC0: 0AC52562
	v_mul_f32_e32 v99, v99, v147                               // 000000005DC4: 0AC72763
	v_pk_mul_f32 v[4:5], v[100:101], v[100:101]                // 000000005DC8: D3B14004 1802C964
	v_pk_mul_f32 v[6:7], v[102:103], v[102:103]                // 000000005DD0: D3B14006 1802CD66
	v_pk_fma_f32 v[4:5], v[4:5], s[78:79], v[8:9]              // 000000005DD8: D3B04004 1C209D04
	v_pk_fma_f32 v[6:7], v[6:7], s[78:79], v[8:9]              // 000000005DE0: D3B04006 1C209D06
	v_pk_mul_f32 v[4:5], v[4:5], v[100:101]                    // 000000005DE8: D3B14004 1802C904
	v_pk_mul_f32 v[6:7], v[6:7], v[102:103]                    // 000000005DF0: D3B14006 1802CD06
	v_pk_mul_f32 v[4:5], v[4:5], s[60:61]                      // 000000005DF8: D3B14004 18007904
	v_pk_mul_f32 v[6:7], v[6:7], s[60:61]                      // 000000005E00: D3B14006 18007906
	v_exp_f32_e32 v4, v4                                       // 000000005E08: 7E084104
	v_exp_f32_e32 v5, v5                                       // 000000005E0C: 7E0A4105
	v_exp_f32_e32 v6, v6                                       // 000000005E10: 7E0C4106
	v_exp_f32_e32 v7, v7                                       // 000000005E14: 7E0E4107
	v_add_f32_e64 v4, v4, 1.0                                  // 000000005E18: D1010004 0001E504
	v_add_f32_e64 v5, v5, 1.0                                  // 000000005E20: D1010005 0001E505
	v_add_f32_e64 v6, v6, 1.0                                  // 000000005E28: D1010006 0001E506
	v_add_f32_e64 v7, v7, 1.0                                  // 000000005E30: D1010007 0001E507
	v_rcp_f32_e32 v4, v4                                       // 000000005E38: 7E084504
	v_rcp_f32_e32 v5, v5                                       // 000000005E3C: 7E0A4505
	v_rcp_f32_e32 v6, v6                                       // 000000005E40: 7E0C4506
	v_rcp_f32_e32 v7, v7                                       // 000000005E44: 7E0E4507
	v_mul_f32_e32 v100, v100, v4                               // 000000005E48: 0AC80964
	v_mul_f32_e32 v101, v101, v5                               // 000000005E4C: 0ACA0B65
	v_mul_f32_e32 v102, v102, v6                               // 000000005E50: 0ACC0D66
	v_mul_f32_e32 v103, v103, v7                               // 000000005E54: 0ACE0F67
	v_mul_f32_e32 v100, v100, v148                             // 000000005E58: 0AC92964
	v_mul_f32_e32 v101, v101, v149                             // 000000005E5C: 0ACB2B65
	v_mul_f32_e32 v102, v102, v150                             // 000000005E60: 0ACD2D66
	v_mul_f32_e32 v103, v103, v151                             // 000000005E64: 0ACF2F67
	v_pk_mul_f32 v[4:5], v[104:105], v[104:105]                // 000000005E68: D3B14004 1802D168
	v_pk_mul_f32 v[6:7], v[106:107], v[106:107]                // 000000005E70: D3B14006 1802D56A
	v_pk_fma_f32 v[4:5], v[4:5], s[78:79], v[8:9]              // 000000005E78: D3B04004 1C209D04
	v_pk_fma_f32 v[6:7], v[6:7], s[78:79], v[8:9]              // 000000005E80: D3B04006 1C209D06
	v_pk_mul_f32 v[4:5], v[4:5], v[104:105]                    // 000000005E88: D3B14004 1802D104
	v_pk_mul_f32 v[6:7], v[6:7], v[106:107]                    // 000000005E90: D3B14006 1802D506
	v_pk_mul_f32 v[4:5], v[4:5], s[60:61]                      // 000000005E98: D3B14004 18007904
	v_pk_mul_f32 v[6:7], v[6:7], s[60:61]                      // 000000005EA0: D3B14006 18007906
	v_exp_f32_e32 v4, v4                                       // 000000005EA8: 7E084104
	v_exp_f32_e32 v5, v5                                       // 000000005EAC: 7E0A4105
	v_exp_f32_e32 v6, v6                                       // 000000005EB0: 7E0C4106
	v_exp_f32_e32 v7, v7                                       // 000000005EB4: 7E0E4107
	v_add_f32_e64 v4, v4, 1.0                                  // 000000005EB8: D1010004 0001E504
	v_add_f32_e64 v5, v5, 1.0                                  // 000000005EC0: D1010005 0001E505
	v_add_f32_e64 v6, v6, 1.0                                  // 000000005EC8: D1010006 0001E506
	v_add_f32_e64 v7, v7, 1.0                                  // 000000005ED0: D1010007 0001E507
	v_rcp_f32_e32 v4, v4                                       // 000000005ED8: 7E084504
	v_rcp_f32_e32 v5, v5                                       // 000000005EDC: 7E0A4505
	v_rcp_f32_e32 v6, v6                                       // 000000005EE0: 7E0C4506
	v_rcp_f32_e32 v7, v7                                       // 000000005EE4: 7E0E4507
	v_mul_f32_e32 v104, v104, v4                               // 000000005EE8: 0AD00968
	v_mul_f32_e32 v105, v105, v5                               // 000000005EEC: 0AD20B69
	v_mul_f32_e32 v106, v106, v6                               // 000000005EF0: 0AD40D6A
	v_mul_f32_e32 v107, v107, v7                               // 000000005EF4: 0AD60F6B
	v_mul_f32_e32 v104, v104, v152                             // 000000005EF8: 0AD13168
	v_mul_f32_e32 v105, v105, v153                             // 000000005EFC: 0AD33369
	v_mul_f32_e32 v106, v106, v154                             // 000000005F00: 0AD5356A
	v_mul_f32_e32 v107, v107, v155                             // 000000005F04: 0AD7376B
	v_pk_mul_f32 v[4:5], v[108:109], v[108:109]                // 000000005F08: D3B14004 1802D96C
	v_pk_mul_f32 v[6:7], v[110:111], v[110:111]                // 000000005F10: D3B14006 1802DD6E
	v_pk_fma_f32 v[4:5], v[4:5], s[78:79], v[8:9]              // 000000005F18: D3B04004 1C209D04
	v_pk_fma_f32 v[6:7], v[6:7], s[78:79], v[8:9]              // 000000005F20: D3B04006 1C209D06
	v_pk_mul_f32 v[4:5], v[4:5], v[108:109]                    // 000000005F28: D3B14004 1802D904
	v_pk_mul_f32 v[6:7], v[6:7], v[110:111]                    // 000000005F30: D3B14006 1802DD06
	v_pk_mul_f32 v[4:5], v[4:5], s[60:61]                      // 000000005F38: D3B14004 18007904
	v_pk_mul_f32 v[6:7], v[6:7], s[60:61]                      // 000000005F40: D3B14006 18007906
	v_exp_f32_e32 v4, v4                                       // 000000005F48: 7E084104
	v_exp_f32_e32 v5, v5                                       // 000000005F4C: 7E0A4105
	v_exp_f32_e32 v6, v6                                       // 000000005F50: 7E0C4106
	v_exp_f32_e32 v7, v7                                       // 000000005F54: 7E0E4107
	v_add_f32_e64 v4, v4, 1.0                                  // 000000005F58: D1010004 0001E504
	v_add_f32_e64 v5, v5, 1.0                                  // 000000005F60: D1010005 0001E505
	v_add_f32_e64 v6, v6, 1.0                                  // 000000005F68: D1010006 0001E506
	v_add_f32_e64 v7, v7, 1.0                                  // 000000005F70: D1010007 0001E507
	v_rcp_f32_e32 v4, v4                                       // 000000005F78: 7E084504
	v_rcp_f32_e32 v5, v5                                       // 000000005F7C: 7E0A4505
	v_rcp_f32_e32 v6, v6                                       // 000000005F80: 7E0C4506
	v_rcp_f32_e32 v7, v7                                       // 000000005F84: 7E0E4507
	v_mul_f32_e32 v108, v108, v4                               // 000000005F88: 0AD8096C
	v_mul_f32_e32 v109, v109, v5                               // 000000005F8C: 0ADA0B6D
	v_mul_f32_e32 v110, v110, v6                               // 000000005F90: 0ADC0D6E
	v_mul_f32_e32 v111, v111, v7                               // 000000005F94: 0ADE0F6F
	v_mul_f32_e32 v108, v108, v156                             // 000000005F98: 0AD9396C
	v_mul_f32_e32 v109, v109, v157                             // 000000005F9C: 0ADB3B6D
	v_mul_f32_e32 v110, v110, v158                             // 000000005FA0: 0ADD3D6E
	v_mul_f32_e32 v111, v111, v159                             // 000000005FA4: 0ADF3F6F
	v_pk_mul_f32 v[4:5], v[112:113], v[112:113]                // 000000005FA8: D3B14004 1802E170
	v_pk_mul_f32 v[6:7], v[114:115], v[114:115]                // 000000005FB0: D3B14006 1802E572
	v_pk_fma_f32 v[4:5], v[4:5], s[78:79], v[8:9]              // 000000005FB8: D3B04004 1C209D04
	v_pk_fma_f32 v[6:7], v[6:7], s[78:79], v[8:9]              // 000000005FC0: D3B04006 1C209D06
	v_pk_mul_f32 v[4:5], v[4:5], v[112:113]                    // 000000005FC8: D3B14004 1802E104
	v_pk_mul_f32 v[6:7], v[6:7], v[114:115]                    // 000000005FD0: D3B14006 1802E506
	v_pk_mul_f32 v[4:5], v[4:5], s[60:61]                      // 000000005FD8: D3B14004 18007904
	v_pk_mul_f32 v[6:7], v[6:7], s[60:61]                      // 000000005FE0: D3B14006 18007906
	v_exp_f32_e32 v4, v4                                       // 000000005FE8: 7E084104
	v_exp_f32_e32 v5, v5                                       // 000000005FEC: 7E0A4105
	v_exp_f32_e32 v6, v6                                       // 000000005FF0: 7E0C4106
	v_exp_f32_e32 v7, v7                                       // 000000005FF4: 7E0E4107
	v_add_f32_e64 v4, v4, 1.0                                  // 000000005FF8: D1010004 0001E504
	v_add_f32_e64 v5, v5, 1.0                                  // 000000006000: D1010005 0001E505
	v_add_f32_e64 v6, v6, 1.0                                  // 000000006008: D1010006 0001E506
	v_add_f32_e64 v7, v7, 1.0                                  // 000000006010: D1010007 0001E507
	v_rcp_f32_e32 v4, v4                                       // 000000006018: 7E084504
	v_rcp_f32_e32 v5, v5                                       // 00000000601C: 7E0A4505
	v_rcp_f32_e32 v6, v6                                       // 000000006020: 7E0C4506
	v_rcp_f32_e32 v7, v7                                       // 000000006024: 7E0E4507
	v_mul_f32_e32 v112, v112, v4                               // 000000006028: 0AE00970
	v_mul_f32_e32 v113, v113, v5                               // 00000000602C: 0AE20B71
	v_mul_f32_e32 v114, v114, v6                               // 000000006030: 0AE40D72
	v_mul_f32_e32 v115, v115, v7                               // 000000006034: 0AE60F73
	v_mul_f32_e32 v112, v112, v160                             // 000000006038: 0AE14170
	v_mul_f32_e32 v113, v113, v161                             // 00000000603C: 0AE34371
	v_mul_f32_e32 v114, v114, v162                             // 000000006040: 0AE54572
	v_mul_f32_e32 v115, v115, v163                             // 000000006044: 0AE74773
	s_branch label_0F13                                        // 000000006048: BF820180

000000000000604c <label_0D93>:
	v_mul_f32_e64 v4, -v68, s6                                 // 00000000604C: D1050004 20000D44
	v_mul_f32_e64 v5, -v69, s6                                 // 000000006054: D1050005 20000D45
	v_mul_f32_e64 v6, -v70, s6                                 // 00000000605C: D1050006 20000D46
	v_mul_f32_e64 v7, -v71, s6                                 // 000000006064: D1050007 20000D47
	v_exp_f32_e32 v4, v4                                       // 00000000606C: 7E084104
	v_exp_f32_e32 v5, v5                                       // 000000006070: 7E0A4105
	v_exp_f32_e32 v6, v6                                       // 000000006074: 7E0C4106
	v_exp_f32_e32 v7, v7                                       // 000000006078: 7E0E4107
	v_add_f32_e64 v4, v4, 1.0                                  // 00000000607C: D1010004 0001E504
	v_add_f32_e64 v5, v5, 1.0                                  // 000000006084: D1010005 0001E505
	v_add_f32_e64 v6, v6, 1.0                                  // 00000000608C: D1010006 0001E506
	v_add_f32_e64 v7, v7, 1.0                                  // 000000006094: D1010007 0001E507
	v_rcp_f32_e32 v4, v4                                       // 00000000609C: 7E084504
	v_rcp_f32_e32 v5, v5                                       // 0000000060A0: 7E0A4505
	v_rcp_f32_e32 v6, v6                                       // 0000000060A4: 7E0C4506
	v_rcp_f32_e32 v7, v7                                       // 0000000060A8: 7E0E4507
	v_mul_f32_e32 v68, v68, v4                                 // 0000000060AC: 0A880944
	v_mul_f32_e32 v69, v69, v5                                 // 0000000060B0: 0A8A0B45
	v_mul_f32_e32 v70, v70, v6                                 // 0000000060B4: 0A8C0D46
	v_mul_f32_e32 v71, v71, v7                                 // 0000000060B8: 0A8E0F47
	v_mul_f32_e32 v68, v68, v116                               // 0000000060BC: 0A88E944
	v_mul_f32_e32 v69, v69, v117                               // 0000000060C0: 0A8AEB45
	v_mul_f32_e32 v70, v70, v118                               // 0000000060C4: 0A8CED46
	v_mul_f32_e32 v71, v71, v119                               // 0000000060C8: 0A8EEF47
	v_mul_f32_e64 v4, -v72, s6                                 // 0000000060CC: D1050004 20000D48
	v_mul_f32_e64 v5, -v73, s6                                 // 0000000060D4: D1050005 20000D49
	v_mul_f32_e64 v6, -v74, s6                                 // 0000000060DC: D1050006 20000D4A
	v_mul_f32_e64 v7, -v75, s6                                 // 0000000060E4: D1050007 20000D4B
	v_exp_f32_e32 v4, v4                                       // 0000000060EC: 7E084104
	v_exp_f32_e32 v5, v5                                       // 0000000060F0: 7E0A4105
	v_exp_f32_e32 v6, v6                                       // 0000000060F4: 7E0C4106
	v_exp_f32_e32 v7, v7                                       // 0000000060F8: 7E0E4107
	v_add_f32_e64 v4, v4, 1.0                                  // 0000000060FC: D1010004 0001E504
	v_add_f32_e64 v5, v5, 1.0                                  // 000000006104: D1010005 0001E505
	v_add_f32_e64 v6, v6, 1.0                                  // 00000000610C: D1010006 0001E506
	v_add_f32_e64 v7, v7, 1.0                                  // 000000006114: D1010007 0001E507
	v_rcp_f32_e32 v4, v4                                       // 00000000611C: 7E084504
	v_rcp_f32_e32 v5, v5                                       // 000000006120: 7E0A4505
	v_rcp_f32_e32 v6, v6                                       // 000000006124: 7E0C4506
	v_rcp_f32_e32 v7, v7                                       // 000000006128: 7E0E4507
	v_mul_f32_e32 v72, v72, v4                                 // 00000000612C: 0A900948
	v_mul_f32_e32 v73, v73, v5                                 // 000000006130: 0A920B49
	v_mul_f32_e32 v74, v74, v6                                 // 000000006134: 0A940D4A
	v_mul_f32_e32 v75, v75, v7                                 // 000000006138: 0A960F4B
	v_mul_f32_e32 v72, v72, v120                               // 00000000613C: 0A90F148
	v_mul_f32_e32 v73, v73, v121                               // 000000006140: 0A92F349
	v_mul_f32_e32 v74, v74, v122                               // 000000006144: 0A94F54A
	v_mul_f32_e32 v75, v75, v123                               // 000000006148: 0A96F74B
	v_mul_f32_e64 v4, -v76, s6                                 // 00000000614C: D1050004 20000D4C
	v_mul_f32_e64 v5, -v77, s6                                 // 000000006154: D1050005 20000D4D
	v_mul_f32_e64 v6, -v78, s6                                 // 00000000615C: D1050006 20000D4E
	v_mul_f32_e64 v7, -v79, s6                                 // 000000006164: D1050007 20000D4F
	v_exp_f32_e32 v4, v4                                       // 00000000616C: 7E084104
	v_exp_f32_e32 v5, v5                                       // 000000006170: 7E0A4105
	v_exp_f32_e32 v6, v6                                       // 000000006174: 7E0C4106
	v_exp_f32_e32 v7, v7                                       // 000000006178: 7E0E4107
	v_add_f32_e64 v4, v4, 1.0                                  // 00000000617C: D1010004 0001E504
	v_add_f32_e64 v5, v5, 1.0                                  // 000000006184: D1010005 0001E505
	v_add_f32_e64 v6, v6, 1.0                                  // 00000000618C: D1010006 0001E506
	v_add_f32_e64 v7, v7, 1.0                                  // 000000006194: D1010007 0001E507
	v_rcp_f32_e32 v4, v4                                       // 00000000619C: 7E084504
	v_rcp_f32_e32 v5, v5                                       // 0000000061A0: 7E0A4505
	v_rcp_f32_e32 v6, v6                                       // 0000000061A4: 7E0C4506
	v_rcp_f32_e32 v7, v7                                       // 0000000061A8: 7E0E4507
	v_mul_f32_e32 v76, v76, v4                                 // 0000000061AC: 0A98094C
	v_mul_f32_e32 v77, v77, v5                                 // 0000000061B0: 0A9A0B4D
	v_mul_f32_e32 v78, v78, v6                                 // 0000000061B4: 0A9C0D4E
	v_mul_f32_e32 v79, v79, v7                                 // 0000000061B8: 0A9E0F4F
	v_mul_f32_e32 v76, v76, v124                               // 0000000061BC: 0A98F94C
	v_mul_f32_e32 v77, v77, v125                               // 0000000061C0: 0A9AFB4D
	v_mul_f32_e32 v78, v78, v126                               // 0000000061C4: 0A9CFD4E
	v_mul_f32_e32 v79, v79, v127                               // 0000000061C8: 0A9EFF4F
	v_mul_f32_e64 v4, -v80, s6                                 // 0000000061CC: D1050004 20000D50
	v_mul_f32_e64 v5, -v81, s6                                 // 0000000061D4: D1050005 20000D51
	v_mul_f32_e64 v6, -v82, s6                                 // 0000000061DC: D1050006 20000D52
	v_mul_f32_e64 v7, -v83, s6                                 // 0000000061E4: D1050007 20000D53
	v_exp_f32_e32 v4, v4                                       // 0000000061EC: 7E084104
	v_exp_f32_e32 v5, v5                                       // 0000000061F0: 7E0A4105
	v_exp_f32_e32 v6, v6                                       // 0000000061F4: 7E0C4106
	v_exp_f32_e32 v7, v7                                       // 0000000061F8: 7E0E4107
	v_add_f32_e64 v4, v4, 1.0                                  // 0000000061FC: D1010004 0001E504
	v_add_f32_e64 v5, v5, 1.0                                  // 000000006204: D1010005 0001E505
	v_add_f32_e64 v6, v6, 1.0                                  // 00000000620C: D1010006 0001E506
	v_add_f32_e64 v7, v7, 1.0                                  // 000000006214: D1010007 0001E507
	v_rcp_f32_e32 v4, v4                                       // 00000000621C: 7E084504
	v_rcp_f32_e32 v5, v5                                       // 000000006220: 7E0A4505
	v_rcp_f32_e32 v6, v6                                       // 000000006224: 7E0C4506
	v_rcp_f32_e32 v7, v7                                       // 000000006228: 7E0E4507
	v_mul_f32_e32 v80, v80, v4                                 // 00000000622C: 0AA00950
	v_mul_f32_e32 v81, v81, v5                                 // 000000006230: 0AA20B51
	v_mul_f32_e32 v82, v82, v6                                 // 000000006234: 0AA40D52
	v_mul_f32_e32 v83, v83, v7                                 // 000000006238: 0AA60F53
	v_mul_f32_e32 v80, v80, v128                               // 00000000623C: 0AA10150
	v_mul_f32_e32 v81, v81, v129                               // 000000006240: 0AA30351
	v_mul_f32_e32 v82, v82, v130                               // 000000006244: 0AA50552
	v_mul_f32_e32 v83, v83, v131                               // 000000006248: 0AA70753
	v_mul_f32_e64 v4, -v84, s6                                 // 00000000624C: D1050004 20000D54
	v_mul_f32_e64 v5, -v85, s6                                 // 000000006254: D1050005 20000D55
	v_mul_f32_e64 v6, -v86, s6                                 // 00000000625C: D1050006 20000D56
	v_mul_f32_e64 v7, -v87, s6                                 // 000000006264: D1050007 20000D57
	v_exp_f32_e32 v4, v4                                       // 00000000626C: 7E084104
	v_exp_f32_e32 v5, v5                                       // 000000006270: 7E0A4105
	v_exp_f32_e32 v6, v6                                       // 000000006274: 7E0C4106
	v_exp_f32_e32 v7, v7                                       // 000000006278: 7E0E4107
	v_add_f32_e64 v4, v4, 1.0                                  // 00000000627C: D1010004 0001E504
	v_add_f32_e64 v5, v5, 1.0                                  // 000000006284: D1010005 0001E505
	v_add_f32_e64 v6, v6, 1.0                                  // 00000000628C: D1010006 0001E506
	v_add_f32_e64 v7, v7, 1.0                                  // 000000006294: D1010007 0001E507
	v_rcp_f32_e32 v4, v4                                       // 00000000629C: 7E084504
	v_rcp_f32_e32 v5, v5                                       // 0000000062A0: 7E0A4505
	v_rcp_f32_e32 v6, v6                                       // 0000000062A4: 7E0C4506
	v_rcp_f32_e32 v7, v7                                       // 0000000062A8: 7E0E4507
	v_mul_f32_e32 v84, v84, v4                                 // 0000000062AC: 0AA80954
	v_mul_f32_e32 v85, v85, v5                                 // 0000000062B0: 0AAA0B55
	v_mul_f32_e32 v86, v86, v6                                 // 0000000062B4: 0AAC0D56
	v_mul_f32_e32 v87, v87, v7                                 // 0000000062B8: 0AAE0F57
	v_mul_f32_e32 v84, v84, v132                               // 0000000062BC: 0AA90954
	v_mul_f32_e32 v85, v85, v133                               // 0000000062C0: 0AAB0B55
	v_mul_f32_e32 v86, v86, v134                               // 0000000062C4: 0AAD0D56
	v_mul_f32_e32 v87, v87, v135                               // 0000000062C8: 0AAF0F57
	v_mul_f32_e64 v4, -v88, s6                                 // 0000000062CC: D1050004 20000D58
	v_mul_f32_e64 v5, -v89, s6                                 // 0000000062D4: D1050005 20000D59
	v_mul_f32_e64 v6, -v90, s6                                 // 0000000062DC: D1050006 20000D5A
	v_mul_f32_e64 v7, -v91, s6                                 // 0000000062E4: D1050007 20000D5B
	v_exp_f32_e32 v4, v4                                       // 0000000062EC: 7E084104
	v_exp_f32_e32 v5, v5                                       // 0000000062F0: 7E0A4105
	v_exp_f32_e32 v6, v6                                       // 0000000062F4: 7E0C4106
	v_exp_f32_e32 v7, v7                                       // 0000000062F8: 7E0E4107
	v_add_f32_e64 v4, v4, 1.0                                  // 0000000062FC: D1010004 0001E504
	v_add_f32_e64 v5, v5, 1.0                                  // 000000006304: D1010005 0001E505
	v_add_f32_e64 v6, v6, 1.0                                  // 00000000630C: D1010006 0001E506
	v_add_f32_e64 v7, v7, 1.0                                  // 000000006314: D1010007 0001E507
	v_rcp_f32_e32 v4, v4                                       // 00000000631C: 7E084504
	v_rcp_f32_e32 v5, v5                                       // 000000006320: 7E0A4505
	v_rcp_f32_e32 v6, v6                                       // 000000006324: 7E0C4506
	v_rcp_f32_e32 v7, v7                                       // 000000006328: 7E0E4507
	v_mul_f32_e32 v88, v88, v4                                 // 00000000632C: 0AB00958
	v_mul_f32_e32 v89, v89, v5                                 // 000000006330: 0AB20B59
	v_mul_f32_e32 v90, v90, v6                                 // 000000006334: 0AB40D5A
	v_mul_f32_e32 v91, v91, v7                                 // 000000006338: 0AB60F5B
	v_mul_f32_e32 v88, v88, v136                               // 00000000633C: 0AB11158
	v_mul_f32_e32 v89, v89, v137                               // 000000006340: 0AB31359
	v_mul_f32_e32 v90, v90, v138                               // 000000006344: 0AB5155A
	v_mul_f32_e32 v91, v91, v139                               // 000000006348: 0AB7175B
	v_mul_f32_e64 v4, -v92, s6                                 // 00000000634C: D1050004 20000D5C
	v_mul_f32_e64 v5, -v93, s6                                 // 000000006354: D1050005 20000D5D
	v_mul_f32_e64 v6, -v94, s6                                 // 00000000635C: D1050006 20000D5E
	v_mul_f32_e64 v7, -v95, s6                                 // 000000006364: D1050007 20000D5F
	v_exp_f32_e32 v4, v4                                       // 00000000636C: 7E084104
	v_exp_f32_e32 v5, v5                                       // 000000006370: 7E0A4105
	v_exp_f32_e32 v6, v6                                       // 000000006374: 7E0C4106
	v_exp_f32_e32 v7, v7                                       // 000000006378: 7E0E4107
	v_add_f32_e64 v4, v4, 1.0                                  // 00000000637C: D1010004 0001E504
	v_add_f32_e64 v5, v5, 1.0                                  // 000000006384: D1010005 0001E505
	v_add_f32_e64 v6, v6, 1.0                                  // 00000000638C: D1010006 0001E506
	v_add_f32_e64 v7, v7, 1.0                                  // 000000006394: D1010007 0001E507
	v_rcp_f32_e32 v4, v4                                       // 00000000639C: 7E084504
	v_rcp_f32_e32 v5, v5                                       // 0000000063A0: 7E0A4505
	v_rcp_f32_e32 v6, v6                                       // 0000000063A4: 7E0C4506
	v_rcp_f32_e32 v7, v7                                       // 0000000063A8: 7E0E4507
	v_mul_f32_e32 v92, v92, v4                                 // 0000000063AC: 0AB8095C
	v_mul_f32_e32 v93, v93, v5                                 // 0000000063B0: 0ABA0B5D
	v_mul_f32_e32 v94, v94, v6                                 // 0000000063B4: 0ABC0D5E
	v_mul_f32_e32 v95, v95, v7                                 // 0000000063B8: 0ABE0F5F
	v_mul_f32_e32 v92, v92, v140                               // 0000000063BC: 0AB9195C
	v_mul_f32_e32 v93, v93, v141                               // 0000000063C0: 0ABB1B5D
	v_mul_f32_e32 v94, v94, v142                               // 0000000063C4: 0ABD1D5E
	v_mul_f32_e32 v95, v95, v143                               // 0000000063C8: 0ABF1F5F
	v_mul_f32_e64 v4, -v96, s6                                 // 0000000063CC: D1050004 20000D60
	v_mul_f32_e64 v5, -v97, s6                                 // 0000000063D4: D1050005 20000D61
	v_mul_f32_e64 v6, -v98, s6                                 // 0000000063DC: D1050006 20000D62
	v_mul_f32_e64 v7, -v99, s6                                 // 0000000063E4: D1050007 20000D63
	v_exp_f32_e32 v4, v4                                       // 0000000063EC: 7E084104
	v_exp_f32_e32 v5, v5                                       // 0000000063F0: 7E0A4105
	v_exp_f32_e32 v6, v6                                       // 0000000063F4: 7E0C4106
	v_exp_f32_e32 v7, v7                                       // 0000000063F8: 7E0E4107
	v_add_f32_e64 v4, v4, 1.0                                  // 0000000063FC: D1010004 0001E504
	v_add_f32_e64 v5, v5, 1.0                                  // 000000006404: D1010005 0001E505
	v_add_f32_e64 v6, v6, 1.0                                  // 00000000640C: D1010006 0001E506
	v_add_f32_e64 v7, v7, 1.0                                  // 000000006414: D1010007 0001E507
	v_rcp_f32_e32 v4, v4                                       // 00000000641C: 7E084504
	v_rcp_f32_e32 v5, v5                                       // 000000006420: 7E0A4505
	v_rcp_f32_e32 v6, v6                                       // 000000006424: 7E0C4506
	v_rcp_f32_e32 v7, v7                                       // 000000006428: 7E0E4507
	v_mul_f32_e32 v96, v96, v4                                 // 00000000642C: 0AC00960
	v_mul_f32_e32 v97, v97, v5                                 // 000000006430: 0AC20B61
	v_mul_f32_e32 v98, v98, v6                                 // 000000006434: 0AC40D62
	v_mul_f32_e32 v99, v99, v7                                 // 000000006438: 0AC60F63
	v_mul_f32_e32 v96, v96, v144                               // 00000000643C: 0AC12160
	v_mul_f32_e32 v97, v97, v145                               // 000000006440: 0AC32361
	v_mul_f32_e32 v98, v98, v146                               // 000000006444: 0AC52562
	v_mul_f32_e32 v99, v99, v147                               // 000000006448: 0AC72763
	v_mul_f32_e64 v4, -v100, s6                                // 00000000644C: D1050004 20000D64
	v_mul_f32_e64 v5, -v101, s6                                // 000000006454: D1050005 20000D65
	v_mul_f32_e64 v6, -v102, s6                                // 00000000645C: D1050006 20000D66
	v_mul_f32_e64 v7, -v103, s6                                // 000000006464: D1050007 20000D67
	v_exp_f32_e32 v4, v4                                       // 00000000646C: 7E084104
	v_exp_f32_e32 v5, v5                                       // 000000006470: 7E0A4105
	v_exp_f32_e32 v6, v6                                       // 000000006474: 7E0C4106
	v_exp_f32_e32 v7, v7                                       // 000000006478: 7E0E4107
	v_add_f32_e64 v4, v4, 1.0                                  // 00000000647C: D1010004 0001E504
	v_add_f32_e64 v5, v5, 1.0                                  // 000000006484: D1010005 0001E505
	v_add_f32_e64 v6, v6, 1.0                                  // 00000000648C: D1010006 0001E506
	v_add_f32_e64 v7, v7, 1.0                                  // 000000006494: D1010007 0001E507
	v_rcp_f32_e32 v4, v4                                       // 00000000649C: 7E084504
	v_rcp_f32_e32 v5, v5                                       // 0000000064A0: 7E0A4505
	v_rcp_f32_e32 v6, v6                                       // 0000000064A4: 7E0C4506
	v_rcp_f32_e32 v7, v7                                       // 0000000064A8: 7E0E4507
	v_mul_f32_e32 v100, v100, v4                               // 0000000064AC: 0AC80964
	v_mul_f32_e32 v101, v101, v5                               // 0000000064B0: 0ACA0B65
	v_mul_f32_e32 v102, v102, v6                               // 0000000064B4: 0ACC0D66
	v_mul_f32_e32 v103, v103, v7                               // 0000000064B8: 0ACE0F67
	v_mul_f32_e32 v100, v100, v148                             // 0000000064BC: 0AC92964
	v_mul_f32_e32 v101, v101, v149                             // 0000000064C0: 0ACB2B65
	v_mul_f32_e32 v102, v102, v150                             // 0000000064C4: 0ACD2D66
	v_mul_f32_e32 v103, v103, v151                             // 0000000064C8: 0ACF2F67
	v_mul_f32_e64 v4, -v104, s6                                // 0000000064CC: D1050004 20000D68
	v_mul_f32_e64 v5, -v105, s6                                // 0000000064D4: D1050005 20000D69
	v_mul_f32_e64 v6, -v106, s6                                // 0000000064DC: D1050006 20000D6A
	v_mul_f32_e64 v7, -v107, s6                                // 0000000064E4: D1050007 20000D6B
	v_exp_f32_e32 v4, v4                                       // 0000000064EC: 7E084104
	v_exp_f32_e32 v5, v5                                       // 0000000064F0: 7E0A4105
	v_exp_f32_e32 v6, v6                                       // 0000000064F4: 7E0C4106
	v_exp_f32_e32 v7, v7                                       // 0000000064F8: 7E0E4107
	v_add_f32_e64 v4, v4, 1.0                                  // 0000000064FC: D1010004 0001E504
	v_add_f32_e64 v5, v5, 1.0                                  // 000000006504: D1010005 0001E505
	v_add_f32_e64 v6, v6, 1.0                                  // 00000000650C: D1010006 0001E506
	v_add_f32_e64 v7, v7, 1.0                                  // 000000006514: D1010007 0001E507
	v_rcp_f32_e32 v4, v4                                       // 00000000651C: 7E084504
	v_rcp_f32_e32 v5, v5                                       // 000000006520: 7E0A4505
	v_rcp_f32_e32 v6, v6                                       // 000000006524: 7E0C4506
	v_rcp_f32_e32 v7, v7                                       // 000000006528: 7E0E4507
	v_mul_f32_e32 v104, v104, v4                               // 00000000652C: 0AD00968
	v_mul_f32_e32 v105, v105, v5                               // 000000006530: 0AD20B69
	v_mul_f32_e32 v106, v106, v6                               // 000000006534: 0AD40D6A
	v_mul_f32_e32 v107, v107, v7                               // 000000006538: 0AD60F6B
	v_mul_f32_e32 v104, v104, v152                             // 00000000653C: 0AD13168
	v_mul_f32_e32 v105, v105, v153                             // 000000006540: 0AD33369
	v_mul_f32_e32 v106, v106, v154                             // 000000006544: 0AD5356A
	v_mul_f32_e32 v107, v107, v155                             // 000000006548: 0AD7376B
	v_mul_f32_e64 v4, -v108, s6                                // 00000000654C: D1050004 20000D6C
	v_mul_f32_e64 v5, -v109, s6                                // 000000006554: D1050005 20000D6D
	v_mul_f32_e64 v6, -v110, s6                                // 00000000655C: D1050006 20000D6E
	v_mul_f32_e64 v7, -v111, s6                                // 000000006564: D1050007 20000D6F
	v_exp_f32_e32 v4, v4                                       // 00000000656C: 7E084104
	v_exp_f32_e32 v5, v5                                       // 000000006570: 7E0A4105
	v_exp_f32_e32 v6, v6                                       // 000000006574: 7E0C4106
	v_exp_f32_e32 v7, v7                                       // 000000006578: 7E0E4107
	v_add_f32_e64 v4, v4, 1.0                                  // 00000000657C: D1010004 0001E504
	v_add_f32_e64 v5, v5, 1.0                                  // 000000006584: D1010005 0001E505
	v_add_f32_e64 v6, v6, 1.0                                  // 00000000658C: D1010006 0001E506
	v_add_f32_e64 v7, v7, 1.0                                  // 000000006594: D1010007 0001E507
	v_rcp_f32_e32 v4, v4                                       // 00000000659C: 7E084504
	v_rcp_f32_e32 v5, v5                                       // 0000000065A0: 7E0A4505
	v_rcp_f32_e32 v6, v6                                       // 0000000065A4: 7E0C4506
	v_rcp_f32_e32 v7, v7                                       // 0000000065A8: 7E0E4507
	v_mul_f32_e32 v108, v108, v4                               // 0000000065AC: 0AD8096C
	v_mul_f32_e32 v109, v109, v5                               // 0000000065B0: 0ADA0B6D
	v_mul_f32_e32 v110, v110, v6                               // 0000000065B4: 0ADC0D6E
	v_mul_f32_e32 v111, v111, v7                               // 0000000065B8: 0ADE0F6F
	v_mul_f32_e32 v108, v108, v156                             // 0000000065BC: 0AD9396C
	v_mul_f32_e32 v109, v109, v157                             // 0000000065C0: 0ADB3B6D
	v_mul_f32_e32 v110, v110, v158                             // 0000000065C4: 0ADD3D6E
	v_mul_f32_e32 v111, v111, v159                             // 0000000065C8: 0ADF3F6F
	v_mul_f32_e64 v4, -v112, s6                                // 0000000065CC: D1050004 20000D70
	v_mul_f32_e64 v5, -v113, s6                                // 0000000065D4: D1050005 20000D71
	v_mul_f32_e64 v6, -v114, s6                                // 0000000065DC: D1050006 20000D72
	v_mul_f32_e64 v7, -v115, s6                                // 0000000065E4: D1050007 20000D73
	v_exp_f32_e32 v4, v4                                       // 0000000065EC: 7E084104
	v_exp_f32_e32 v5, v5                                       // 0000000065F0: 7E0A4105
	v_exp_f32_e32 v6, v6                                       // 0000000065F4: 7E0C4106
	v_exp_f32_e32 v7, v7                                       // 0000000065F8: 7E0E4107
	v_add_f32_e64 v4, v4, 1.0                                  // 0000000065FC: D1010004 0001E504
	v_add_f32_e64 v5, v5, 1.0                                  // 000000006604: D1010005 0001E505
	v_add_f32_e64 v6, v6, 1.0                                  // 00000000660C: D1010006 0001E506
	v_add_f32_e64 v7, v7, 1.0                                  // 000000006614: D1010007 0001E507
	v_rcp_f32_e32 v4, v4                                       // 00000000661C: 7E084504
	v_rcp_f32_e32 v5, v5                                       // 000000006620: 7E0A4505
	v_rcp_f32_e32 v6, v6                                       // 000000006624: 7E0C4506
	v_rcp_f32_e32 v7, v7                                       // 000000006628: 7E0E4507
	v_mul_f32_e32 v112, v112, v4                               // 00000000662C: 0AE00970
	v_mul_f32_e32 v113, v113, v5                               // 000000006630: 0AE20B71
	v_mul_f32_e32 v114, v114, v6                               // 000000006634: 0AE40D72
	v_mul_f32_e32 v115, v115, v7                               // 000000006638: 0AE60F73
	v_mul_f32_e32 v112, v112, v160                             // 00000000663C: 0AE14170
	v_mul_f32_e32 v113, v113, v161                             // 000000006640: 0AE34371
	v_mul_f32_e32 v114, v114, v162                             // 000000006644: 0AE54572
	v_mul_f32_e32 v115, v115, v163                             // 000000006648: 0AE74773

000000000000664c <label_0F13>:
	v_cmp_u_f32_e64 s[46:47], v68, v68                         // 00000000664C: D048002E 00028944
	v_add3_u32 v16, v68, v19, 1                                // 000000006654: D1FF0010 02062744
	v_cndmask_b32_e64 v4, v16, v18, s[46:47]                   // 00000000665C: D1000004 00BA2510
	v_cmp_u_f32_e64 s[46:47], v69, v69                         // 000000006664: D048002E 00028B45
	v_add3_u32 v16, v69, v19, 1                                // 00000000666C: D1FF0010 02062745
	v_cndmask_b32_e64 v5, v16, v18, s[46:47]                   // 000000006674: D1000005 00BA2510
	v_perm_b32 v68, v5, v4, s52                                // 00000000667C: D1ED0044 00D20905
	v_cmp_u_f32_e64 s[46:47], v70, v70                         // 000000006684: D048002E 00028D46
	v_add3_u32 v16, v70, v19, 1                                // 00000000668C: D1FF0010 02062746
	v_cndmask_b32_e64 v4, v16, v18, s[46:47]                   // 000000006694: D1000004 00BA2510
	v_cmp_u_f32_e64 s[46:47], v71, v71                         // 00000000669C: D048002E 00028F47
	v_add3_u32 v16, v71, v19, 1                                // 0000000066A4: D1FF0010 02062747
	v_cndmask_b32_e64 v5, v16, v18, s[46:47]                   // 0000000066AC: D1000005 00BA2510
	v_perm_b32 v69, v5, v4, s52                                // 0000000066B4: D1ED0045 00D20905
	v_cmp_u_f32_e64 s[46:47], v72, v72                         // 0000000066BC: D048002E 00029148
	v_add3_u32 v16, v72, v19, 1                                // 0000000066C4: D1FF0010 02062748
	v_cndmask_b32_e64 v4, v16, v18, s[46:47]                   // 0000000066CC: D1000004 00BA2510
	v_cmp_u_f32_e64 s[46:47], v73, v73                         // 0000000066D4: D048002E 00029349
	v_add3_u32 v16, v73, v19, 1                                // 0000000066DC: D1FF0010 02062749
	v_cndmask_b32_e64 v5, v16, v18, s[46:47]                   // 0000000066E4: D1000005 00BA2510
	v_perm_b32 v70, v5, v4, s52                                // 0000000066EC: D1ED0046 00D20905
	v_cmp_u_f32_e64 s[46:47], v74, v74                         // 0000000066F4: D048002E 0002954A
	v_add3_u32 v16, v74, v19, 1                                // 0000000066FC: D1FF0010 0206274A
	v_cndmask_b32_e64 v4, v16, v18, s[46:47]                   // 000000006704: D1000004 00BA2510
	v_cmp_u_f32_e64 s[46:47], v75, v75                         // 00000000670C: D048002E 0002974B
	v_add3_u32 v16, v75, v19, 1                                // 000000006714: D1FF0010 0206274B
	v_cndmask_b32_e64 v5, v16, v18, s[46:47]                   // 00000000671C: D1000005 00BA2510
	v_perm_b32 v71, v5, v4, s52                                // 000000006724: D1ED0047 00D20905
	v_cmp_u_f32_e64 s[46:47], v76, v76                         // 00000000672C: D048002E 0002994C
	v_add3_u32 v16, v76, v19, 1                                // 000000006734: D1FF0010 0206274C
	v_cndmask_b32_e64 v4, v16, v18, s[46:47]                   // 00000000673C: D1000004 00BA2510
	v_cmp_u_f32_e64 s[46:47], v77, v77                         // 000000006744: D048002E 00029B4D
	v_add3_u32 v16, v77, v19, 1                                // 00000000674C: D1FF0010 0206274D
	v_cndmask_b32_e64 v5, v16, v18, s[46:47]                   // 000000006754: D1000005 00BA2510
	v_perm_b32 v72, v5, v4, s52                                // 00000000675C: D1ED0048 00D20905
	v_cmp_u_f32_e64 s[46:47], v78, v78                         // 000000006764: D048002E 00029D4E
	v_add3_u32 v16, v78, v19, 1                                // 00000000676C: D1FF0010 0206274E
	v_cndmask_b32_e64 v4, v16, v18, s[46:47]                   // 000000006774: D1000004 00BA2510
	v_cmp_u_f32_e64 s[46:47], v79, v79                         // 00000000677C: D048002E 00029F4F
	v_add3_u32 v16, v79, v19, 1                                // 000000006784: D1FF0010 0206274F
	v_cndmask_b32_e64 v5, v16, v18, s[46:47]                   // 00000000678C: D1000005 00BA2510
	v_perm_b32 v73, v5, v4, s52                                // 000000006794: D1ED0049 00D20905
	v_cmp_u_f32_e64 s[46:47], v80, v80                         // 00000000679C: D048002E 0002A150
	v_add3_u32 v16, v80, v19, 1                                // 0000000067A4: D1FF0010 02062750
	v_cndmask_b32_e64 v4, v16, v18, s[46:47]                   // 0000000067AC: D1000004 00BA2510
	v_cmp_u_f32_e64 s[46:47], v81, v81                         // 0000000067B4: D048002E 0002A351
	v_add3_u32 v16, v81, v19, 1                                // 0000000067BC: D1FF0010 02062751
	v_cndmask_b32_e64 v5, v16, v18, s[46:47]                   // 0000000067C4: D1000005 00BA2510
	v_perm_b32 v74, v5, v4, s52                                // 0000000067CC: D1ED004A 00D20905
	v_cmp_u_f32_e64 s[46:47], v82, v82                         // 0000000067D4: D048002E 0002A552
	v_add3_u32 v16, v82, v19, 1                                // 0000000067DC: D1FF0010 02062752
	v_cndmask_b32_e64 v4, v16, v18, s[46:47]                   // 0000000067E4: D1000004 00BA2510
	v_cmp_u_f32_e64 s[46:47], v83, v83                         // 0000000067EC: D048002E 0002A753
	v_add3_u32 v16, v83, v19, 1                                // 0000000067F4: D1FF0010 02062753
	v_cndmask_b32_e64 v5, v16, v18, s[46:47]                   // 0000000067FC: D1000005 00BA2510
	v_perm_b32 v75, v5, v4, s52                                // 000000006804: D1ED004B 00D20905
	v_cmp_u_f32_e64 s[46:47], v84, v84                         // 00000000680C: D048002E 0002A954
	v_add3_u32 v16, v84, v19, 1                                // 000000006814: D1FF0010 02062754
	v_cndmask_b32_e64 v4, v16, v18, s[46:47]                   // 00000000681C: D1000004 00BA2510
	v_cmp_u_f32_e64 s[46:47], v85, v85                         // 000000006824: D048002E 0002AB55
	v_add3_u32 v16, v85, v19, 1                                // 00000000682C: D1FF0010 02062755
	v_cndmask_b32_e64 v5, v16, v18, s[46:47]                   // 000000006834: D1000005 00BA2510
	v_perm_b32 v76, v5, v4, s52                                // 00000000683C: D1ED004C 00D20905
	v_cmp_u_f32_e64 s[46:47], v86, v86                         // 000000006844: D048002E 0002AD56
	v_add3_u32 v16, v86, v19, 1                                // 00000000684C: D1FF0010 02062756
	v_cndmask_b32_e64 v4, v16, v18, s[46:47]                   // 000000006854: D1000004 00BA2510
	v_cmp_u_f32_e64 s[46:47], v87, v87                         // 00000000685C: D048002E 0002AF57
	v_add3_u32 v16, v87, v19, 1                                // 000000006864: D1FF0010 02062757
	v_cndmask_b32_e64 v5, v16, v18, s[46:47]                   // 00000000686C: D1000005 00BA2510
	v_perm_b32 v77, v5, v4, s52                                // 000000006874: D1ED004D 00D20905
	v_cmp_u_f32_e64 s[46:47], v88, v88                         // 00000000687C: D048002E 0002B158
	v_add3_u32 v16, v88, v19, 1                                // 000000006884: D1FF0010 02062758
	v_cndmask_b32_e64 v4, v16, v18, s[46:47]                   // 00000000688C: D1000004 00BA2510
	v_cmp_u_f32_e64 s[46:47], v89, v89                         // 000000006894: D048002E 0002B359
	v_add3_u32 v16, v89, v19, 1                                // 00000000689C: D1FF0010 02062759
	v_cndmask_b32_e64 v5, v16, v18, s[46:47]                   // 0000000068A4: D1000005 00BA2510
	v_perm_b32 v78, v5, v4, s52                                // 0000000068AC: D1ED004E 00D20905
	v_cmp_u_f32_e64 s[46:47], v90, v90                         // 0000000068B4: D048002E 0002B55A
	v_add3_u32 v16, v90, v19, 1                                // 0000000068BC: D1FF0010 0206275A
	v_cndmask_b32_e64 v4, v16, v18, s[46:47]                   // 0000000068C4: D1000004 00BA2510
	v_cmp_u_f32_e64 s[46:47], v91, v91                         // 0000000068CC: D048002E 0002B75B
	v_add3_u32 v16, v91, v19, 1                                // 0000000068D4: D1FF0010 0206275B
	v_cndmask_b32_e64 v5, v16, v18, s[46:47]                   // 0000000068DC: D1000005 00BA2510
	v_perm_b32 v79, v5, v4, s52                                // 0000000068E4: D1ED004F 00D20905
	v_cmp_u_f32_e64 s[46:47], v92, v92                         // 0000000068EC: D048002E 0002B95C
	v_add3_u32 v16, v92, v19, 1                                // 0000000068F4: D1FF0010 0206275C
	v_cndmask_b32_e64 v4, v16, v18, s[46:47]                   // 0000000068FC: D1000004 00BA2510
	v_cmp_u_f32_e64 s[46:47], v93, v93                         // 000000006904: D048002E 0002BB5D
	v_add3_u32 v16, v93, v19, 1                                // 00000000690C: D1FF0010 0206275D
	v_cndmask_b32_e64 v5, v16, v18, s[46:47]                   // 000000006914: D1000005 00BA2510
	v_perm_b32 v80, v5, v4, s52                                // 00000000691C: D1ED0050 00D20905
	v_cmp_u_f32_e64 s[46:47], v94, v94                         // 000000006924: D048002E 0002BD5E
	v_add3_u32 v16, v94, v19, 1                                // 00000000692C: D1FF0010 0206275E
	v_cndmask_b32_e64 v4, v16, v18, s[46:47]                   // 000000006934: D1000004 00BA2510
	v_cmp_u_f32_e64 s[46:47], v95, v95                         // 00000000693C: D048002E 0002BF5F
	v_add3_u32 v16, v95, v19, 1                                // 000000006944: D1FF0010 0206275F
	v_cndmask_b32_e64 v5, v16, v18, s[46:47]                   // 00000000694C: D1000005 00BA2510
	v_perm_b32 v81, v5, v4, s52                                // 000000006954: D1ED0051 00D20905
	v_cmp_u_f32_e64 s[46:47], v96, v96                         // 00000000695C: D048002E 0002C160
	v_add3_u32 v16, v96, v19, 1                                // 000000006964: D1FF0010 02062760
	v_cndmask_b32_e64 v4, v16, v18, s[46:47]                   // 00000000696C: D1000004 00BA2510
	v_cmp_u_f32_e64 s[46:47], v97, v97                         // 000000006974: D048002E 0002C361
	v_add3_u32 v16, v97, v19, 1                                // 00000000697C: D1FF0010 02062761
	v_cndmask_b32_e64 v5, v16, v18, s[46:47]                   // 000000006984: D1000005 00BA2510
	v_perm_b32 v82, v5, v4, s52                                // 00000000698C: D1ED0052 00D20905
	v_cmp_u_f32_e64 s[46:47], v98, v98                         // 000000006994: D048002E 0002C562
	v_add3_u32 v16, v98, v19, 1                                // 00000000699C: D1FF0010 02062762
	v_cndmask_b32_e64 v4, v16, v18, s[46:47]                   // 0000000069A4: D1000004 00BA2510
	v_cmp_u_f32_e64 s[46:47], v99, v99                         // 0000000069AC: D048002E 0002C763
	v_add3_u32 v16, v99, v19, 1                                // 0000000069B4: D1FF0010 02062763
	v_cndmask_b32_e64 v5, v16, v18, s[46:47]                   // 0000000069BC: D1000005 00BA2510
	v_perm_b32 v83, v5, v4, s52                                // 0000000069C4: D1ED0053 00D20905
	v_cmp_u_f32_e64 s[46:47], v100, v100                       // 0000000069CC: D048002E 0002C964
	v_add3_u32 v16, v100, v19, 1                               // 0000000069D4: D1FF0010 02062764
	v_cndmask_b32_e64 v4, v16, v18, s[46:47]                   // 0000000069DC: D1000004 00BA2510
	v_cmp_u_f32_e64 s[46:47], v101, v101                       // 0000000069E4: D048002E 0002CB65
	v_add3_u32 v16, v101, v19, 1                               // 0000000069EC: D1FF0010 02062765
	v_cndmask_b32_e64 v5, v16, v18, s[46:47]                   // 0000000069F4: D1000005 00BA2510
	v_perm_b32 v84, v5, v4, s52                                // 0000000069FC: D1ED0054 00D20905
	v_cmp_u_f32_e64 s[46:47], v102, v102                       // 000000006A04: D048002E 0002CD66
	v_add3_u32 v16, v102, v19, 1                               // 000000006A0C: D1FF0010 02062766
	v_cndmask_b32_e64 v4, v16, v18, s[46:47]                   // 000000006A14: D1000004 00BA2510
	v_cmp_u_f32_e64 s[46:47], v103, v103                       // 000000006A1C: D048002E 0002CF67
	v_add3_u32 v16, v103, v19, 1                               // 000000006A24: D1FF0010 02062767
	v_cndmask_b32_e64 v5, v16, v18, s[46:47]                   // 000000006A2C: D1000005 00BA2510
	v_perm_b32 v85, v5, v4, s52                                // 000000006A34: D1ED0055 00D20905
	v_cmp_u_f32_e64 s[46:47], v104, v104                       // 000000006A3C: D048002E 0002D168
	v_add3_u32 v16, v104, v19, 1                               // 000000006A44: D1FF0010 02062768
	v_cndmask_b32_e64 v4, v16, v18, s[46:47]                   // 000000006A4C: D1000004 00BA2510
	v_cmp_u_f32_e64 s[46:47], v105, v105                       // 000000006A54: D048002E 0002D369
	v_add3_u32 v16, v105, v19, 1                               // 000000006A5C: D1FF0010 02062769
	v_cndmask_b32_e64 v5, v16, v18, s[46:47]                   // 000000006A64: D1000005 00BA2510
	v_perm_b32 v86, v5, v4, s52                                // 000000006A6C: D1ED0056 00D20905
	v_cmp_u_f32_e64 s[46:47], v106, v106                       // 000000006A74: D048002E 0002D56A
	v_add3_u32 v16, v106, v19, 1                               // 000000006A7C: D1FF0010 0206276A
	v_cndmask_b32_e64 v4, v16, v18, s[46:47]                   // 000000006A84: D1000004 00BA2510
	v_cmp_u_f32_e64 s[46:47], v107, v107                       // 000000006A8C: D048002E 0002D76B
	v_add3_u32 v16, v107, v19, 1                               // 000000006A94: D1FF0010 0206276B
	v_cndmask_b32_e64 v5, v16, v18, s[46:47]                   // 000000006A9C: D1000005 00BA2510
	v_perm_b32 v87, v5, v4, s52                                // 000000006AA4: D1ED0057 00D20905
	v_cmp_u_f32_e64 s[46:47], v108, v108                       // 000000006AAC: D048002E 0002D96C
	v_add3_u32 v16, v108, v19, 1                               // 000000006AB4: D1FF0010 0206276C
	v_cndmask_b32_e64 v4, v16, v18, s[46:47]                   // 000000006ABC: D1000004 00BA2510
	v_cmp_u_f32_e64 s[46:47], v109, v109                       // 000000006AC4: D048002E 0002DB6D
	v_add3_u32 v16, v109, v19, 1                               // 000000006ACC: D1FF0010 0206276D
	v_cndmask_b32_e64 v5, v16, v18, s[46:47]                   // 000000006AD4: D1000005 00BA2510
	v_perm_b32 v88, v5, v4, s52                                // 000000006ADC: D1ED0058 00D20905
	v_cmp_u_f32_e64 s[46:47], v110, v110                       // 000000006AE4: D048002E 0002DD6E
	v_add3_u32 v16, v110, v19, 1                               // 000000006AEC: D1FF0010 0206276E
	v_cndmask_b32_e64 v4, v16, v18, s[46:47]                   // 000000006AF4: D1000004 00BA2510
	v_cmp_u_f32_e64 s[46:47], v111, v111                       // 000000006AFC: D048002E 0002DF6F
	v_add3_u32 v16, v111, v19, 1                               // 000000006B04: D1FF0010 0206276F
	v_cndmask_b32_e64 v5, v16, v18, s[46:47]                   // 000000006B0C: D1000005 00BA2510
	v_perm_b32 v89, v5, v4, s52                                // 000000006B14: D1ED0059 00D20905
	v_cmp_u_f32_e64 s[46:47], v112, v112                       // 000000006B1C: D048002E 0002E170
	v_add3_u32 v16, v112, v19, 1                               // 000000006B24: D1FF0010 02062770
	v_cndmask_b32_e64 v4, v16, v18, s[46:47]                   // 000000006B2C: D1000004 00BA2510
	v_cmp_u_f32_e64 s[46:47], v113, v113                       // 000000006B34: D048002E 0002E371
	v_add3_u32 v16, v113, v19, 1                               // 000000006B3C: D1FF0010 02062771
	v_cndmask_b32_e64 v5, v16, v18, s[46:47]                   // 000000006B44: D1000005 00BA2510
	v_perm_b32 v90, v5, v4, s52                                // 000000006B4C: D1ED005A 00D20905
	v_cmp_u_f32_e64 s[46:47], v114, v114                       // 000000006B54: D048002E 0002E572
	v_add3_u32 v16, v114, v19, 1                               // 000000006B5C: D1FF0010 02062772
	v_cndmask_b32_e64 v4, v16, v18, s[46:47]                   // 000000006B64: D1000004 00BA2510
	v_cmp_u_f32_e64 s[46:47], v115, v115                       // 000000006B6C: D048002E 0002E773
	v_add3_u32 v16, v115, v19, 1                               // 000000006B74: D1FF0010 02062773
	v_cndmask_b32_e64 v5, v16, v18, s[46:47]                   // 000000006B7C: D1000005 00BA2510
	v_perm_b32 v91, v5, v4, s52                                // 000000006B84: D1ED005B 00D20905
	ds_write_b64 v20, v[68:69]                                 // 000000006B8C: D89A0000 00004414
	ds_write_b64 v20, v[70:71] offset:4352                     // 000000006B94: D89A1100 00004614
	ds_write_b64 v20, v[72:73] offset:8704                     // 000000006B9C: D89A2200 00004814
	ds_write_b64 v20, v[74:75] offset:13056                    // 000000006BA4: D89A3300 00004A14
	ds_write_b64 v20, v[76:77] offset:17408                    // 000000006BAC: D89A4400 00004C14
	ds_write_b64 v20, v[78:79] offset:21760                    // 000000006BB4: D89A5500 00004E14
	ds_write_b64 v20, v[80:81] offset:2176                     // 000000006BBC: D89A0880 00005014
	ds_write_b64 v20, v[82:83] offset:6528                     // 000000006BC4: D89A1980 00005214
	ds_write_b64 v20, v[84:85] offset:10880                    // 000000006BCC: D89A2A80 00005414
	ds_write_b64 v20, v[86:87] offset:15232                    // 000000006BD4: D89A3B80 00005614
	ds_write_b64 v20, v[88:89] offset:19584                    // 000000006BDC: D89A4C80 00005814
	ds_write_b64 v20, v[90:91] offset:23936                    // 000000006BE4: D89A5D80 00005A14
	v_lshrrev_b32_e32 v4, 5, v0                                // 000000006BEC: 20080085
	v_xor_b32_e32 v5, 1, v4                                    // 000000006BF0: 2A0A0881
	s_mul_i32 s60, s65, 2                                      // 000000006BF4: 923C8241
	s_cmp_eq_u32 s88, 0                                        // 000000006BF8: BF068058
	s_cselect_b32 s61, 1, 4                                    // 000000006BFC: 853D8481
	s_mul_i32 s60, s61, s60                                    // 000000006C00: 923C3C3D
	v_readlane_b32 s82, v3, 0                                  // 000000006C04: D2890052 00010103
	s_lshr_b32 s61, s82, 24                                    // 000000006C0C: 8F3D9852
	s_and_b32 s82, s82, 0xffffff                               // 000000006C10: 8652FF52 00FFFFFF
	s_mul_i32 s82, s82, s71                                    // 000000006C18: 92524752
	s_mul_i32 s61, s60, s61                                    // 000000006C1C: 923D3D3C
	s_add_u32 s82, s82, s61                                    // 000000006C20: 80523D52
	v_mul_lo_u32 v6, v5, s82                                   // 000000006C24: D2850006 0000A505
	v_readlane_b32 s82, v3, 1                                  // 000000006C2C: D2890052 00010303
	s_lshr_b32 s61, s82, 24                                    // 000000006C34: 8F3D9852
	s_and_b32 s82, s82, 0xffffff                               // 000000006C38: 8652FF52 00FFFFFF
	s_mul_i32 s82, s82, s71                                    // 000000006C40: 92524752
	s_mul_i32 s61, s60, s61                                    // 000000006C44: 923D3D3C
	s_add_u32 s82, s82, s61                                    // 000000006C48: 80523D52
	v_mul_lo_u32 v7, v4, s82                                   // 000000006C4C: D2850007 0000A504
	v_add_u32_e32 v54, v6, v7                                  // 000000006C54: 686C0F06
	v_readlane_b32 s82, v3, 2                                  // 000000006C58: D2890052 00010503
	s_lshr_b32 s61, s82, 24                                    // 000000006C60: 8F3D9852
	s_and_b32 s82, s82, 0xffffff                               // 000000006C64: 8652FF52 00FFFFFF
	s_mul_i32 s82, s82, s71                                    // 000000006C6C: 92524752
	s_mul_i32 s61, s60, s61                                    // 000000006C70: 923D3D3C
	s_add_u32 s82, s82, s61                                    // 000000006C74: 80523D52
	v_mul_lo_u32 v6, v5, s82                                   // 000000006C78: D2850006 0000A505
	v_readlane_b32 s82, v3, 3                                  // 000000006C80: D2890052 00010703
	s_lshr_b32 s61, s82, 24                                    // 000000006C88: 8F3D9852
	s_and_b32 s82, s82, 0xffffff                               // 000000006C8C: 8652FF52 00FFFFFF
	s_mul_i32 s82, s82, s71                                    // 000000006C94: 92524752
	s_mul_i32 s61, s60, s61                                    // 000000006C98: 923D3D3C
	s_add_u32 s82, s82, s61                                    // 000000006C9C: 80523D52
	v_mul_lo_u32 v7, v4, s82                                   // 000000006CA0: D2850007 0000A504
	v_add_u32_e32 v55, v6, v7                                  // 000000006CA8: 686E0F06
	v_readlane_b32 s82, v3, 4                                  // 000000006CAC: D2890052 00010903
	s_lshr_b32 s61, s82, 24                                    // 000000006CB4: 8F3D9852
	s_and_b32 s82, s82, 0xffffff                               // 000000006CB8: 8652FF52 00FFFFFF
	s_mul_i32 s82, s82, s71                                    // 000000006CC0: 92524752
	s_mul_i32 s61, s60, s61                                    // 000000006CC4: 923D3D3C
	s_add_u32 s82, s82, s61                                    // 000000006CC8: 80523D52
	v_mul_lo_u32 v6, v5, s82                                   // 000000006CCC: D2850006 0000A505
	v_readlane_b32 s82, v3, 5                                  // 000000006CD4: D2890052 00010B03
	s_lshr_b32 s61, s82, 24                                    // 000000006CDC: 8F3D9852
	s_and_b32 s82, s82, 0xffffff                               // 000000006CE0: 8652FF52 00FFFFFF
	s_mul_i32 s82, s82, s71                                    // 000000006CE8: 92524752
	s_mul_i32 s61, s60, s61                                    // 000000006CEC: 923D3D3C
	s_add_u32 s82, s82, s61                                    // 000000006CF0: 80523D52
	v_mul_lo_u32 v7, v4, s82                                   // 000000006CF4: D2850007 0000A504
	v_add_u32_e32 v56, v6, v7                                  // 000000006CFC: 68700F06
	v_readlane_b32 s82, v3, 6                                  // 000000006D00: D2890052 00010D03
	s_lshr_b32 s61, s82, 24                                    // 000000006D08: 8F3D9852
	s_and_b32 s82, s82, 0xffffff                               // 000000006D0C: 8652FF52 00FFFFFF
	s_mul_i32 s82, s82, s71                                    // 000000006D14: 92524752
	s_mul_i32 s61, s60, s61                                    // 000000006D18: 923D3D3C
	s_add_u32 s82, s82, s61                                    // 000000006D1C: 80523D52
	v_mul_lo_u32 v6, v5, s82                                   // 000000006D20: D2850006 0000A505
	v_readlane_b32 s82, v3, 7                                  // 000000006D28: D2890052 00010F03
	s_lshr_b32 s61, s82, 24                                    // 000000006D30: 8F3D9852
	s_and_b32 s82, s82, 0xffffff                               // 000000006D34: 8652FF52 00FFFFFF
	s_mul_i32 s82, s82, s71                                    // 000000006D3C: 92524752
	s_mul_i32 s61, s60, s61                                    // 000000006D40: 923D3D3C
	s_add_u32 s82, s82, s61                                    // 000000006D44: 80523D52
	v_mul_lo_u32 v7, v4, s82                                   // 000000006D48: D2850007 0000A504
	v_add_u32_e32 v57, v6, v7                                  // 000000006D50: 68720F06
	v_readlane_b32 s82, v3, 8                                  // 000000006D54: D2890052 00011103
	s_lshr_b32 s61, s82, 24                                    // 000000006D5C: 8F3D9852
	s_and_b32 s82, s82, 0xffffff                               // 000000006D60: 8652FF52 00FFFFFF
	s_mul_i32 s82, s82, s71                                    // 000000006D68: 92524752
	s_mul_i32 s61, s60, s61                                    // 000000006D6C: 923D3D3C
	s_add_u32 s82, s82, s61                                    // 000000006D70: 80523D52
	v_mul_lo_u32 v6, v5, s82                                   // 000000006D74: D2850006 0000A505
	v_readlane_b32 s82, v3, 9                                  // 000000006D7C: D2890052 00011303
	s_lshr_b32 s61, s82, 24                                    // 000000006D84: 8F3D9852
	s_and_b32 s82, s82, 0xffffff                               // 000000006D88: 8652FF52 00FFFFFF
	s_mul_i32 s82, s82, s71                                    // 000000006D90: 92524752
	s_mul_i32 s61, s60, s61                                    // 000000006D94: 923D3D3C
	s_add_u32 s82, s82, s61                                    // 000000006D98: 80523D52
	v_mul_lo_u32 v7, v4, s82                                   // 000000006D9C: D2850007 0000A504
	v_add_u32_e32 v58, v6, v7                                  // 000000006DA4: 68740F06
	v_readlane_b32 s82, v3, 10                                 // 000000006DA8: D2890052 00011503
	s_lshr_b32 s61, s82, 24                                    // 000000006DB0: 8F3D9852
	s_and_b32 s82, s82, 0xffffff                               // 000000006DB4: 8652FF52 00FFFFFF
	s_mul_i32 s82, s82, s71                                    // 000000006DBC: 92524752
	s_mul_i32 s61, s60, s61                                    // 000000006DC0: 923D3D3C
	s_add_u32 s82, s82, s61                                    // 000000006DC4: 80523D52
	v_mul_lo_u32 v6, v5, s82                                   // 000000006DC8: D2850006 0000A505
	v_readlane_b32 s82, v3, 11                                 // 000000006DD0: D2890052 00011703
	s_lshr_b32 s61, s82, 24                                    // 000000006DD8: 8F3D9852
	s_and_b32 s82, s82, 0xffffff                               // 000000006DDC: 8652FF52 00FFFFFF
	s_mul_i32 s82, s82, s71                                    // 000000006DE4: 92524752
	s_mul_i32 s61, s60, s61                                    // 000000006DE8: 923D3D3C
	s_add_u32 s82, s82, s61                                    // 000000006DEC: 80523D52
	v_mul_lo_u32 v7, v4, s82                                   // 000000006DF0: D2850007 0000A504
	v_add_u32_e32 v59, v6, v7                                  // 000000006DF8: 68760F06
	v_readlane_b32 s82, v3, 12                                 // 000000006DFC: D2890052 00011903
	s_lshr_b32 s61, s82, 24                                    // 000000006E04: 8F3D9852
	s_and_b32 s82, s82, 0xffffff                               // 000000006E08: 8652FF52 00FFFFFF
	s_mul_i32 s82, s82, s71                                    // 000000006E10: 92524752
	s_mul_i32 s61, s60, s61                                    // 000000006E14: 923D3D3C
	s_add_u32 s82, s82, s61                                    // 000000006E18: 80523D52
	v_mul_lo_u32 v6, v5, s82                                   // 000000006E1C: D2850006 0000A505
	v_readlane_b32 s82, v3, 13                                 // 000000006E24: D2890052 00011B03
	s_lshr_b32 s61, s82, 24                                    // 000000006E2C: 8F3D9852
	s_and_b32 s82, s82, 0xffffff                               // 000000006E30: 8652FF52 00FFFFFF
	s_mul_i32 s82, s82, s71                                    // 000000006E38: 92524752
	s_mul_i32 s61, s60, s61                                    // 000000006E3C: 923D3D3C
	s_add_u32 s82, s82, s61                                    // 000000006E40: 80523D52
	v_mul_lo_u32 v7, v4, s82                                   // 000000006E44: D2850007 0000A504
	v_add_u32_e32 v60, v6, v7                                  // 000000006E4C: 68780F06
	v_readlane_b32 s82, v3, 14                                 // 000000006E50: D2890052 00011D03
	s_lshr_b32 s61, s82, 24                                    // 000000006E58: 8F3D9852
	s_and_b32 s82, s82, 0xffffff                               // 000000006E5C: 8652FF52 00FFFFFF
	s_mul_i32 s82, s82, s71                                    // 000000006E64: 92524752
	s_mul_i32 s61, s60, s61                                    // 000000006E68: 923D3D3C
	s_add_u32 s82, s82, s61                                    // 000000006E6C: 80523D52
	v_mul_lo_u32 v6, v5, s82                                   // 000000006E70: D2850006 0000A505
	v_readlane_b32 s82, v3, 15                                 // 000000006E78: D2890052 00011F03
	s_lshr_b32 s61, s82, 24                                    // 000000006E80: 8F3D9852
	s_and_b32 s82, s82, 0xffffff                               // 000000006E84: 8652FF52 00FFFFFF
	s_mul_i32 s82, s82, s71                                    // 000000006E8C: 92524752
	s_mul_i32 s61, s60, s61                                    // 000000006E90: 923D3D3C
	s_add_u32 s82, s82, s61                                    // 000000006E94: 80523D52
	v_mul_lo_u32 v7, v4, s82                                   // 000000006E98: D2850007 0000A504
	v_add_u32_e32 v61, v6, v7                                  // 000000006EA0: 687A0F06
	v_readlane_b32 s82, v3, 16                                 // 000000006EA4: D2890052 00012103
	s_lshr_b32 s61, s82, 24                                    // 000000006EAC: 8F3D9852
	s_and_b32 s82, s82, 0xffffff                               // 000000006EB0: 8652FF52 00FFFFFF
	s_mul_i32 s82, s82, s71                                    // 000000006EB8: 92524752
	s_mul_i32 s61, s60, s61                                    // 000000006EBC: 923D3D3C
	s_add_u32 s82, s82, s61                                    // 000000006EC0: 80523D52
	v_mul_lo_u32 v6, v5, s82                                   // 000000006EC4: D2850006 0000A505
	v_readlane_b32 s82, v3, 17                                 // 000000006ECC: D2890052 00012303
	s_lshr_b32 s61, s82, 24                                    // 000000006ED4: 8F3D9852
	s_and_b32 s82, s82, 0xffffff                               // 000000006ED8: 8652FF52 00FFFFFF
	s_mul_i32 s82, s82, s71                                    // 000000006EE0: 92524752
	s_mul_i32 s61, s60, s61                                    // 000000006EE4: 923D3D3C
	s_add_u32 s82, s82, s61                                    // 000000006EE8: 80523D52
	v_mul_lo_u32 v7, v4, s82                                   // 000000006EEC: D2850007 0000A504
	v_add_u32_e32 v62, v6, v7                                  // 000000006EF4: 687C0F06
	v_readlane_b32 s82, v3, 18                                 // 000000006EF8: D2890052 00012503
	s_lshr_b32 s61, s82, 24                                    // 000000006F00: 8F3D9852
	s_and_b32 s82, s82, 0xffffff                               // 000000006F04: 8652FF52 00FFFFFF
	s_mul_i32 s82, s82, s71                                    // 000000006F0C: 92524752
	s_mul_i32 s61, s60, s61                                    // 000000006F10: 923D3D3C
	s_add_u32 s82, s82, s61                                    // 000000006F14: 80523D52
	v_mul_lo_u32 v6, v5, s82                                   // 000000006F18: D2850006 0000A505
	v_readlane_b32 s82, v3, 19                                 // 000000006F20: D2890052 00012703
	s_lshr_b32 s61, s82, 24                                    // 000000006F28: 8F3D9852
	s_and_b32 s82, s82, 0xffffff                               // 000000006F2C: 8652FF52 00FFFFFF
	s_mul_i32 s82, s82, s71                                    // 000000006F34: 92524752
	s_mul_i32 s61, s60, s61                                    // 000000006F38: 923D3D3C
	s_add_u32 s82, s82, s61                                    // 000000006F3C: 80523D52
	v_mul_lo_u32 v7, v4, s82                                   // 000000006F40: D2850007 0000A504
	v_add_u32_e32 v63, v6, v7                                  // 000000006F48: 687E0F06
	v_readlane_b32 s82, v3, 20                                 // 000000006F4C: D2890052 00012903
	s_lshr_b32 s61, s82, 24                                    // 000000006F54: 8F3D9852
	s_and_b32 s82, s82, 0xffffff                               // 000000006F58: 8652FF52 00FFFFFF
	s_mul_i32 s82, s82, s71                                    // 000000006F60: 92524752
	s_mul_i32 s61, s60, s61                                    // 000000006F64: 923D3D3C
	s_add_u32 s82, s82, s61                                    // 000000006F68: 80523D52
	v_mul_lo_u32 v6, v5, s82                                   // 000000006F6C: D2850006 0000A505
	v_readlane_b32 s82, v3, 21                                 // 000000006F74: D2890052 00012B03
	s_lshr_b32 s61, s82, 24                                    // 000000006F7C: 8F3D9852
	s_and_b32 s82, s82, 0xffffff                               // 000000006F80: 8652FF52 00FFFFFF
	s_mul_i32 s82, s82, s71                                    // 000000006F88: 92524752
	s_mul_i32 s61, s60, s61                                    // 000000006F8C: 923D3D3C
	s_add_u32 s82, s82, s61                                    // 000000006F90: 80523D52
	v_mul_lo_u32 v7, v4, s82                                   // 000000006F94: D2850007 0000A504
	v_add_u32_e32 v64, v6, v7                                  // 000000006F9C: 68800F06
	v_readlane_b32 s82, v3, 22                                 // 000000006FA0: D2890052 00012D03
	s_lshr_b32 s61, s82, 24                                    // 000000006FA8: 8F3D9852
	s_and_b32 s82, s82, 0xffffff                               // 000000006FAC: 8652FF52 00FFFFFF
	s_mul_i32 s82, s82, s71                                    // 000000006FB4: 92524752
	s_mul_i32 s61, s60, s61                                    // 000000006FB8: 923D3D3C
	s_add_u32 s82, s82, s61                                    // 000000006FBC: 80523D52
	v_mul_lo_u32 v6, v5, s82                                   // 000000006FC0: D2850006 0000A505
	v_readlane_b32 s82, v3, 23                                 // 000000006FC8: D2890052 00012F03
	s_lshr_b32 s61, s82, 24                                    // 000000006FD0: 8F3D9852
	s_and_b32 s82, s82, 0xffffff                               // 000000006FD4: 8652FF52 00FFFFFF
	s_mul_i32 s82, s82, s71                                    // 000000006FDC: 92524752
	s_mul_i32 s61, s60, s61                                    // 000000006FE0: 923D3D3C
	s_add_u32 s82, s82, s61                                    // 000000006FE4: 80523D52
	v_mul_lo_u32 v7, v4, s82                                   // 000000006FE8: D2850007 0000A504
	v_add_u32_e32 v65, v6, v7                                  // 000000006FF0: 68820F06
	v_and_b32_e32 v4, 31, v0                                   // 000000006FF4: 2608009F
	v_lshrrev_b32_e32 v4, 1, v4                                // 000000006FF8: 20080881
	s_cmp_eq_u32 s88, 0                                        // 000000006FFC: BF068058
	s_cselect_b32 s61, 2, 4                                    // 000000007000: 853D8482
	v_mul_lo_u32 v4, v4, s61                                   // 000000007004: D2850004 00007B04
	v_and_b32_e64 v5, v0, 1                                    // 00000000700C: D1130005 00010300
	v_add_u32_e32 v4, v4, v5                                   // 000000007014: 68080B04
	v_lshlrev_b32_e32 v4, 2, v4                                // 000000007018: 24080882
	v_add_u32_e32 v54, v54, v4                                 // 00000000701C: 686C0936
	v_add_u32_e32 v55, v55, v4                                 // 000000007020: 686E0937
	v_add_u32_e32 v56, v56, v4                                 // 000000007024: 68700938
	v_add_u32_e32 v57, v57, v4                                 // 000000007028: 68720939
	v_add_u32_e32 v58, v58, v4                                 // 00000000702C: 6874093A
	v_add_u32_e32 v59, v59, v4                                 // 000000007030: 6876093B
	v_add_u32_e32 v60, v60, v4                                 // 000000007034: 6878093C
	v_add_u32_e32 v61, v61, v4                                 // 000000007038: 687A093D
	v_add_u32_e32 v62, v62, v4                                 // 00000000703C: 687C093E
	v_add_u32_e32 v63, v63, v4                                 // 000000007040: 687E093F
	v_add_u32_e32 v64, v64, v4                                 // 000000007044: 68800940
	v_add_u32_e32 v65, v65, v4                                 // 000000007048: 68820941
	s_waitcnt lgkmcnt(0)                                       // 00000000704C: BF8CC07F
	s_barrier                                                  // 000000007050: BF8A0000
	ds_read_b32 v68, v21                                       // 000000007054: D86C0000 44000015
	ds_read_b32 v69, v21 offset:64                             // 00000000705C: D86C0040 45000015
	ds_read_b32 v70, v21 offset:2176                           // 000000007064: D86C0880 46000015
	ds_read_b32 v71, v21 offset:2240                           // 00000000706C: D86C08C0 47000015
	ds_read_b32 v72, v21 offset:4352                           // 000000007074: D86C1100 48000015
	ds_read_b32 v73, v21 offset:4416                           // 00000000707C: D86C1140 49000015
	ds_read_b32 v74, v21 offset:6528                           // 000000007084: D86C1980 4A000015
	ds_read_b32 v75, v21 offset:6592                           // 00000000708C: D86C19C0 4B000015
	ds_read_b32 v76, v21 offset:8704                           // 000000007094: D86C2200 4C000015
	ds_read_b32 v77, v21 offset:8768                           // 00000000709C: D86C2240 4D000015
	ds_read_b32 v78, v21 offset:10880                          // 0000000070A4: D86C2A80 4E000015
	ds_read_b32 v79, v21 offset:10944                          // 0000000070AC: D86C2AC0 4F000015
	ds_read_b32 v80, v21 offset:13056                          // 0000000070B4: D86C3300 50000015
	ds_read_b32 v81, v21 offset:13120                          // 0000000070BC: D86C3340 51000015
	ds_read_b32 v82, v21 offset:15232                          // 0000000070C4: D86C3B80 52000015
	ds_read_b32 v83, v21 offset:15296                          // 0000000070CC: D86C3BC0 53000015
	ds_read_b32 v84, v21 offset:17408                          // 0000000070D4: D86C4400 54000015
	ds_read_b32 v85, v21 offset:17472                          // 0000000070DC: D86C4440 55000015
	ds_read_b32 v86, v21 offset:19584                          // 0000000070E4: D86C4C80 56000015
	ds_read_b32 v87, v21 offset:19648                          // 0000000070EC: D86C4CC0 57000015
	ds_read_b32 v88, v21 offset:21760                          // 0000000070F4: D86C5500 58000015
	ds_read_b32 v89, v21 offset:21824                          // 0000000070FC: D86C5540 59000015
	ds_read_b32 v90, v21 offset:23936                          // 000000007104: D86C5D80 5A000015
	ds_read_b32 v91, v21 offset:24000                          // 00000000710C: D86C5DC0 5B000015
	s_waitcnt lgkmcnt(0)                                       // 000000007114: BF8CC07F
	s_mov_b32 s36, -1                                          // 000000007118: BEA400C1
	s_mov_b32 s37, -1                                          // 00000000711C: BEA500C1
	v_mov_b32_e32 v7, 0                                        // 000000007120: 7E0E0280
	s_or_b32 s9, s9, 0x40000                                   // 000000007124: 8709FF09 00040000
	s_mov_b64 exec, s[36:37]                                   // 00000000712C: BEFE0124
	v_mov_b32_e32 v6, v54                                      // 000000007130: 7E0C0336
	s_mov_b64 s[60:61], 0                                      // 000000007134: BEBC0180
	v_readlane_b32 s82, v3, 0                                  // 000000007138: D2890052 00010103
	s_and_b32 s82, s82, 0xffffff                               // 000000007140: 8652FF52 00FFFFFF
	s_cmp_lt_u32 s82, s66                                      // 000000007148: BF0A4252
	s_cselect_b32 s20, s36, s60                                // 00000000714C: 85143C24
	v_readlane_b32 s82, v3, 1                                  // 000000007150: D2890052 00010303
	s_and_b32 s82, s82, 0xffffff                               // 000000007158: 8652FF52 00FFFFFF
	s_cmp_lt_u32 s82, s66                                      // 000000007160: BF0A4252
	s_cselect_b32 s21, s36, s60                                // 000000007164: 85153C24
	s_mov_b64 exec, s[20:21]                                   // 000000007168: BEFE0114
	buffer_store_dword v68, v6, s[8:11], 0 offen               // 00000000716C: E0701000 80024406
	buffer_store_dword v70, v6, s[8:11], 0 offen offset:128    // 000000007174: E0701080 80024606
	s_mov_b64 exec, s[36:37]                                   // 00000000717C: BEFE0124
	v_mov_b32_e32 v6, v55                                      // 000000007180: 7E0C0337
	s_mov_b64 s[60:61], 0                                      // 000000007184: BEBC0180
	v_readlane_b32 s82, v3, 2                                  // 000000007188: D2890052 00010503
	s_and_b32 s82, s82, 0xffffff                               // 000000007190: 8652FF52 00FFFFFF
	s_cmp_lt_u32 s82, s66                                      // 000000007198: BF0A4252
	s_cselect_b32 s20, s36, s60                                // 00000000719C: 85143C24
	v_readlane_b32 s82, v3, 3                                  // 0000000071A0: D2890052 00010703
	s_and_b32 s82, s82, 0xffffff                               // 0000000071A8: 8652FF52 00FFFFFF
	s_cmp_lt_u32 s82, s66                                      // 0000000071B0: BF0A4252
	s_cselect_b32 s21, s36, s60                                // 0000000071B4: 85153C24
	s_mov_b64 exec, s[20:21]                                   // 0000000071B8: BEFE0114
	buffer_store_dword v69, v6, s[8:11], 0 offen               // 0000000071BC: E0701000 80024506
	buffer_store_dword v71, v6, s[8:11], 0 offen offset:128    // 0000000071C4: E0701080 80024706
	s_mov_b64 exec, s[36:37]                                   // 0000000071CC: BEFE0124
	v_mov_b32_e32 v6, v56                                      // 0000000071D0: 7E0C0338
	s_mov_b64 s[60:61], 0                                      // 0000000071D4: BEBC0180
	v_readlane_b32 s82, v3, 4                                  // 0000000071D8: D2890052 00010903
	s_and_b32 s82, s82, 0xffffff                               // 0000000071E0: 8652FF52 00FFFFFF
	s_cmp_lt_u32 s82, s66                                      // 0000000071E8: BF0A4252
	s_cselect_b32 s20, s36, s60                                // 0000000071EC: 85143C24
	v_readlane_b32 s82, v3, 5                                  // 0000000071F0: D2890052 00010B03
	s_and_b32 s82, s82, 0xffffff                               // 0000000071F8: 8652FF52 00FFFFFF
	s_cmp_lt_u32 s82, s66                                      // 000000007200: BF0A4252
	s_cselect_b32 s21, s36, s60                                // 000000007204: 85153C24
	s_mov_b64 exec, s[20:21]                                   // 000000007208: BEFE0114
	buffer_store_dword v72, v6, s[8:11], 0 offen               // 00000000720C: E0701000 80024806
	buffer_store_dword v74, v6, s[8:11], 0 offen offset:128    // 000000007214: E0701080 80024A06
	s_mov_b64 exec, s[36:37]                                   // 00000000721C: BEFE0124
	v_mov_b32_e32 v6, v57                                      // 000000007220: 7E0C0339
	s_mov_b64 s[60:61], 0                                      // 000000007224: BEBC0180
	v_readlane_b32 s82, v3, 6                                  // 000000007228: D2890052 00010D03
	s_and_b32 s82, s82, 0xffffff                               // 000000007230: 8652FF52 00FFFFFF
	s_cmp_lt_u32 s82, s66                                      // 000000007238: BF0A4252
	s_cselect_b32 s20, s36, s60                                // 00000000723C: 85143C24
	v_readlane_b32 s82, v3, 7                                  // 000000007240: D2890052 00010F03
	s_and_b32 s82, s82, 0xffffff                               // 000000007248: 8652FF52 00FFFFFF
	s_cmp_lt_u32 s82, s66                                      // 000000007250: BF0A4252
	s_cselect_b32 s21, s36, s60                                // 000000007254: 85153C24
	s_mov_b64 exec, s[20:21]                                   // 000000007258: BEFE0114
	buffer_store_dword v73, v6, s[8:11], 0 offen               // 00000000725C: E0701000 80024906
	buffer_store_dword v75, v6, s[8:11], 0 offen offset:128    // 000000007264: E0701080 80024B06
	s_mov_b64 exec, s[36:37]                                   // 00000000726C: BEFE0124
	v_mov_b32_e32 v6, v58                                      // 000000007270: 7E0C033A
	s_mov_b64 s[60:61], 0                                      // 000000007274: BEBC0180
	v_readlane_b32 s82, v3, 8                                  // 000000007278: D2890052 00011103
	s_and_b32 s82, s82, 0xffffff                               // 000000007280: 8652FF52 00FFFFFF
	s_cmp_lt_u32 s82, s66                                      // 000000007288: BF0A4252
	s_cselect_b32 s20, s36, s60                                // 00000000728C: 85143C24
	v_readlane_b32 s82, v3, 9                                  // 000000007290: D2890052 00011303
	s_and_b32 s82, s82, 0xffffff                               // 000000007298: 8652FF52 00FFFFFF
	s_cmp_lt_u32 s82, s66                                      // 0000000072A0: BF0A4252
	s_cselect_b32 s21, s36, s60                                // 0000000072A4: 85153C24
	s_mov_b64 exec, s[20:21]                                   // 0000000072A8: BEFE0114
	buffer_store_dword v76, v6, s[8:11], 0 offen               // 0000000072AC: E0701000 80024C06
	buffer_store_dword v78, v6, s[8:11], 0 offen offset:128    // 0000000072B4: E0701080 80024E06
	s_mov_b64 exec, s[36:37]                                   // 0000000072BC: BEFE0124
	v_mov_b32_e32 v6, v59                                      // 0000000072C0: 7E0C033B
	s_mov_b64 s[60:61], 0                                      // 0000000072C4: BEBC0180
	v_readlane_b32 s82, v3, 10                                 // 0000000072C8: D2890052 00011503
	s_and_b32 s82, s82, 0xffffff                               // 0000000072D0: 8652FF52 00FFFFFF
	s_cmp_lt_u32 s82, s66                                      // 0000000072D8: BF0A4252
	s_cselect_b32 s20, s36, s60                                // 0000000072DC: 85143C24
	v_readlane_b32 s82, v3, 11                                 // 0000000072E0: D2890052 00011703
	s_and_b32 s82, s82, 0xffffff                               // 0000000072E8: 8652FF52 00FFFFFF
	s_cmp_lt_u32 s82, s66                                      // 0000000072F0: BF0A4252
	s_cselect_b32 s21, s36, s60                                // 0000000072F4: 85153C24
	s_mov_b64 exec, s[20:21]                                   // 0000000072F8: BEFE0114
	buffer_store_dword v77, v6, s[8:11], 0 offen               // 0000000072FC: E0701000 80024D06
	buffer_store_dword v79, v6, s[8:11], 0 offen offset:128    // 000000007304: E0701080 80024F06
	s_mov_b64 exec, s[36:37]                                   // 00000000730C: BEFE0124
	v_mov_b32_e32 v6, v60                                      // 000000007310: 7E0C033C
	s_mov_b64 s[60:61], 0                                      // 000000007314: BEBC0180
	v_readlane_b32 s82, v3, 12                                 // 000000007318: D2890052 00011903
	s_and_b32 s82, s82, 0xffffff                               // 000000007320: 8652FF52 00FFFFFF
	s_cmp_lt_u32 s82, s66                                      // 000000007328: BF0A4252
	s_cselect_b32 s20, s36, s60                                // 00000000732C: 85143C24
	v_readlane_b32 s82, v3, 13                                 // 000000007330: D2890052 00011B03
	s_and_b32 s82, s82, 0xffffff                               // 000000007338: 8652FF52 00FFFFFF
	s_cmp_lt_u32 s82, s66                                      // 000000007340: BF0A4252
	s_cselect_b32 s21, s36, s60                                // 000000007344: 85153C24
	s_mov_b64 exec, s[20:21]                                   // 000000007348: BEFE0114
	buffer_store_dword v80, v6, s[8:11], 0 offen               // 00000000734C: E0701000 80025006
	buffer_store_dword v82, v6, s[8:11], 0 offen offset:128    // 000000007354: E0701080 80025206
	s_mov_b64 exec, s[36:37]                                   // 00000000735C: BEFE0124
	v_mov_b32_e32 v6, v61                                      // 000000007360: 7E0C033D
	s_mov_b64 s[60:61], 0                                      // 000000007364: BEBC0180
	v_readlane_b32 s82, v3, 14                                 // 000000007368: D2890052 00011D03
	s_and_b32 s82, s82, 0xffffff                               // 000000007370: 8652FF52 00FFFFFF
	s_cmp_lt_u32 s82, s66                                      // 000000007378: BF0A4252
	s_cselect_b32 s20, s36, s60                                // 00000000737C: 85143C24
	v_readlane_b32 s82, v3, 15                                 // 000000007380: D2890052 00011F03
	s_and_b32 s82, s82, 0xffffff                               // 000000007388: 8652FF52 00FFFFFF
	s_cmp_lt_u32 s82, s66                                      // 000000007390: BF0A4252
	s_cselect_b32 s21, s36, s60                                // 000000007394: 85153C24
	s_mov_b64 exec, s[20:21]                                   // 000000007398: BEFE0114
	buffer_store_dword v81, v6, s[8:11], 0 offen               // 00000000739C: E0701000 80025106
	buffer_store_dword v83, v6, s[8:11], 0 offen offset:128    // 0000000073A4: E0701080 80025306
	s_mov_b64 exec, s[36:37]                                   // 0000000073AC: BEFE0124
	v_mov_b32_e32 v6, v62                                      // 0000000073B0: 7E0C033E
	s_mov_b64 s[60:61], 0                                      // 0000000073B4: BEBC0180
	v_readlane_b32 s82, v3, 16                                 // 0000000073B8: D2890052 00012103
	s_and_b32 s82, s82, 0xffffff                               // 0000000073C0: 8652FF52 00FFFFFF
	s_cmp_lt_u32 s82, s66                                      // 0000000073C8: BF0A4252
	s_cselect_b32 s20, s36, s60                                // 0000000073CC: 85143C24
	v_readlane_b32 s82, v3, 17                                 // 0000000073D0: D2890052 00012303
	s_and_b32 s82, s82, 0xffffff                               // 0000000073D8: 8652FF52 00FFFFFF
	s_cmp_lt_u32 s82, s66                                      // 0000000073E0: BF0A4252
	s_cselect_b32 s21, s36, s60                                // 0000000073E4: 85153C24
	s_mov_b64 exec, s[20:21]                                   // 0000000073E8: BEFE0114
	buffer_store_dword v84, v6, s[8:11], 0 offen               // 0000000073EC: E0701000 80025406
	buffer_store_dword v86, v6, s[8:11], 0 offen offset:128    // 0000000073F4: E0701080 80025606
	s_mov_b64 exec, s[36:37]                                   // 0000000073FC: BEFE0124
	v_mov_b32_e32 v6, v63                                      // 000000007400: 7E0C033F
	s_mov_b64 s[60:61], 0                                      // 000000007404: BEBC0180
	v_readlane_b32 s82, v3, 18                                 // 000000007408: D2890052 00012503
	s_and_b32 s82, s82, 0xffffff                               // 000000007410: 8652FF52 00FFFFFF
	s_cmp_lt_u32 s82, s66                                      // 000000007418: BF0A4252
	s_cselect_b32 s20, s36, s60                                // 00000000741C: 85143C24
	v_readlane_b32 s82, v3, 19                                 // 000000007420: D2890052 00012703
	s_and_b32 s82, s82, 0xffffff                               // 000000007428: 8652FF52 00FFFFFF
	s_cmp_lt_u32 s82, s66                                      // 000000007430: BF0A4252
	s_cselect_b32 s21, s36, s60                                // 000000007434: 85153C24
	s_mov_b64 exec, s[20:21]                                   // 000000007438: BEFE0114
	buffer_store_dword v85, v6, s[8:11], 0 offen               // 00000000743C: E0701000 80025506
	buffer_store_dword v87, v6, s[8:11], 0 offen offset:128    // 000000007444: E0701080 80025706
	s_mov_b64 exec, s[36:37]                                   // 00000000744C: BEFE0124
	v_mov_b32_e32 v6, v64                                      // 000000007450: 7E0C0340
	s_mov_b64 s[60:61], 0                                      // 000000007454: BEBC0180
	v_readlane_b32 s82, v3, 20                                 // 000000007458: D2890052 00012903
	s_and_b32 s82, s82, 0xffffff                               // 000000007460: 8652FF52 00FFFFFF
	s_cmp_lt_u32 s82, s66                                      // 000000007468: BF0A4252
	s_cselect_b32 s20, s36, s60                                // 00000000746C: 85143C24
	v_readlane_b32 s82, v3, 21                                 // 000000007470: D2890052 00012B03
	s_and_b32 s82, s82, 0xffffff                               // 000000007478: 8652FF52 00FFFFFF
	s_cmp_lt_u32 s82, s66                                      // 000000007480: BF0A4252
	s_cselect_b32 s21, s36, s60                                // 000000007484: 85153C24
	s_mov_b64 exec, s[20:21]                                   // 000000007488: BEFE0114
	buffer_store_dword v88, v6, s[8:11], 0 offen               // 00000000748C: E0701000 80025806
	buffer_store_dword v90, v6, s[8:11], 0 offen offset:128    // 000000007494: E0701080 80025A06
	s_mov_b64 exec, s[36:37]                                   // 00000000749C: BEFE0124
	v_mov_b32_e32 v6, v65                                      // 0000000074A0: 7E0C0341
	s_mov_b64 s[60:61], 0                                      // 0000000074A4: BEBC0180
	v_readlane_b32 s82, v3, 22                                 // 0000000074A8: D2890052 00012D03
	s_and_b32 s82, s82, 0xffffff                               // 0000000074B0: 8652FF52 00FFFFFF
	s_cmp_lt_u32 s82, s66                                      // 0000000074B8: BF0A4252
	s_cselect_b32 s20, s36, s60                                // 0000000074BC: 85143C24
	v_readlane_b32 s82, v3, 23                                 // 0000000074C0: D2890052 00012F03
	s_and_b32 s82, s82, 0xffffff                               // 0000000074C8: 8652FF52 00FFFFFF
	s_cmp_lt_u32 s82, s66                                      // 0000000074D0: BF0A4252
	s_cselect_b32 s21, s36, s60                                // 0000000074D4: 85153C24
	s_mov_b64 exec, s[20:21]                                   // 0000000074D8: BEFE0114
	buffer_store_dword v89, v6, s[8:11], 0 offen               // 0000000074DC: E0701000 80025906
	buffer_store_dword v91, v6, s[8:11], 0 offen offset:128    // 0000000074E4: E0701080 80025B06
	s_mov_b64 exec, s[36:37]                                   // 0000000074EC: BEFE0124
	s_branch label_2E9E                                        // 0000000074F0: BF821BDE

00000000000074f4 <label_12BD>:
	ds_write_b64 v20, v[68:69]                                 // 0000000074F4: D89A0000 00004414
	ds_write_b64 v20, v[72:73] offset:4352                     // 0000000074FC: D89A1100 00004814
	ds_write_b64 v20, v[76:77] offset:8704                     // 000000007504: D89A2200 00004C14
	ds_write_b64 v20, v[80:81] offset:13056                    // 00000000750C: D89A3300 00005014
	ds_write_b64 v20, v[84:85] offset:17408                    // 000000007514: D89A4400 00005414
	ds_write_b64 v20, v[88:89] offset:21760                    // 00000000751C: D89A5500 00005814
	ds_write_b64 v20, v[92:93] offset:2176                     // 000000007524: D89A0880 00005C14
	ds_write_b64 v20, v[96:97] offset:6528                     // 00000000752C: D89A1980 00006014
	ds_write_b64 v20, v[100:101] offset:10880                  // 000000007534: D89A2A80 00006414
	ds_write_b64 v20, v[104:105] offset:15232                  // 00000000753C: D89A3B80 00006814
	ds_write_b64 v20, v[108:109] offset:19584                  // 000000007544: D89A4C80 00006C14
	ds_write_b64 v20, v[112:113] offset:23936                  // 00000000754C: D89A5D80 00007014
	v_lshrrev_b32_e32 v4, 5, v0                                // 000000007554: 20080085
	v_xor_b32_e32 v5, 1, v4                                    // 000000007558: 2A0A0881
	s_mul_i32 s60, s65, 2                                      // 00000000755C: 923C8241
	s_cmp_eq_u32 s88, 0                                        // 000000007560: BF068058
	s_cselect_b32 s61, 1, 4                                    // 000000007564: 853D8481
	s_mul_i32 s60, s61, s60                                    // 000000007568: 923C3C3D
	v_readlane_b32 s82, v3, 0                                  // 00000000756C: D2890052 00010103
	s_lshr_b32 s61, s82, 24                                    // 000000007574: 8F3D9852
	s_and_b32 s82, s82, 0xffffff                               // 000000007578: 8652FF52 00FFFFFF
	s_mul_i32 s82, s82, s71                                    // 000000007580: 92524752
	s_mul_i32 s61, s60, s61                                    // 000000007584: 923D3D3C
	s_add_u32 s82, s82, s61                                    // 000000007588: 80523D52
	v_mul_lo_u32 v6, v5, s82                                   // 00000000758C: D2850006 0000A505
	v_readlane_b32 s82, v3, 1                                  // 000000007594: D2890052 00010303
	s_lshr_b32 s61, s82, 24                                    // 00000000759C: 8F3D9852
	s_and_b32 s82, s82, 0xffffff                               // 0000000075A0: 8652FF52 00FFFFFF
	s_mul_i32 s82, s82, s71                                    // 0000000075A8: 92524752
	s_mul_i32 s61, s60, s61                                    // 0000000075AC: 923D3D3C
	s_add_u32 s82, s82, s61                                    // 0000000075B0: 80523D52
	v_mul_lo_u32 v7, v4, s82                                   // 0000000075B4: D2850007 0000A504
	v_add_u32_e32 v54, v6, v7                                  // 0000000075BC: 686C0F06
	v_readlane_b32 s82, v3, 2                                  // 0000000075C0: D2890052 00010503
	s_lshr_b32 s61, s82, 24                                    // 0000000075C8: 8F3D9852
	s_and_b32 s82, s82, 0xffffff                               // 0000000075CC: 8652FF52 00FFFFFF
	s_mul_i32 s82, s82, s71                                    // 0000000075D4: 92524752
	s_mul_i32 s61, s60, s61                                    // 0000000075D8: 923D3D3C
	s_add_u32 s82, s82, s61                                    // 0000000075DC: 80523D52
	v_mul_lo_u32 v6, v5, s82                                   // 0000000075E0: D2850006 0000A505
	v_readlane_b32 s82, v3, 3                                  // 0000000075E8: D2890052 00010703
	s_lshr_b32 s61, s82, 24                                    // 0000000075F0: 8F3D9852
	s_and_b32 s82, s82, 0xffffff                               // 0000000075F4: 8652FF52 00FFFFFF
	s_mul_i32 s82, s82, s71                                    // 0000000075FC: 92524752
	s_mul_i32 s61, s60, s61                                    // 000000007600: 923D3D3C
	s_add_u32 s82, s82, s61                                    // 000000007604: 80523D52
	v_mul_lo_u32 v7, v4, s82                                   // 000000007608: D2850007 0000A504
	v_add_u32_e32 v55, v6, v7                                  // 000000007610: 686E0F06
	v_readlane_b32 s82, v3, 4                                  // 000000007614: D2890052 00010903
	s_lshr_b32 s61, s82, 24                                    // 00000000761C: 8F3D9852
	s_and_b32 s82, s82, 0xffffff                               // 000000007620: 8652FF52 00FFFFFF
	s_mul_i32 s82, s82, s71                                    // 000000007628: 92524752
	s_mul_i32 s61, s60, s61                                    // 00000000762C: 923D3D3C
	s_add_u32 s82, s82, s61                                    // 000000007630: 80523D52
	v_mul_lo_u32 v6, v5, s82                                   // 000000007634: D2850006 0000A505
	v_readlane_b32 s82, v3, 5                                  // 00000000763C: D2890052 00010B03
	s_lshr_b32 s61, s82, 24                                    // 000000007644: 8F3D9852
	s_and_b32 s82, s82, 0xffffff                               // 000000007648: 8652FF52 00FFFFFF
	s_mul_i32 s82, s82, s71                                    // 000000007650: 92524752
	s_mul_i32 s61, s60, s61                                    // 000000007654: 923D3D3C
	s_add_u32 s82, s82, s61                                    // 000000007658: 80523D52
	v_mul_lo_u32 v7, v4, s82                                   // 00000000765C: D2850007 0000A504
	v_add_u32_e32 v56, v6, v7                                  // 000000007664: 68700F06
	v_readlane_b32 s82, v3, 6                                  // 000000007668: D2890052 00010D03
	s_lshr_b32 s61, s82, 24                                    // 000000007670: 8F3D9852
	s_and_b32 s82, s82, 0xffffff                               // 000000007674: 8652FF52 00FFFFFF
	s_mul_i32 s82, s82, s71                                    // 00000000767C: 92524752
	s_mul_i32 s61, s60, s61                                    // 000000007680: 923D3D3C
	s_add_u32 s82, s82, s61                                    // 000000007684: 80523D52
	v_mul_lo_u32 v6, v5, s82                                   // 000000007688: D2850006 0000A505
	v_readlane_b32 s82, v3, 7                                  // 000000007690: D2890052 00010F03
	s_lshr_b32 s61, s82, 24                                    // 000000007698: 8F3D9852
	s_and_b32 s82, s82, 0xffffff                               // 00000000769C: 8652FF52 00FFFFFF
	s_mul_i32 s82, s82, s71                                    // 0000000076A4: 92524752
	s_mul_i32 s61, s60, s61                                    // 0000000076A8: 923D3D3C
	s_add_u32 s82, s82, s61                                    // 0000000076AC: 80523D52
	v_mul_lo_u32 v7, v4, s82                                   // 0000000076B0: D2850007 0000A504
	v_add_u32_e32 v57, v6, v7                                  // 0000000076B8: 68720F06
	v_readlane_b32 s82, v3, 8                                  // 0000000076BC: D2890052 00011103
	s_lshr_b32 s61, s82, 24                                    // 0000000076C4: 8F3D9852
	s_and_b32 s82, s82, 0xffffff                               // 0000000076C8: 8652FF52 00FFFFFF
	s_mul_i32 s82, s82, s71                                    // 0000000076D0: 92524752
	s_mul_i32 s61, s60, s61                                    // 0000000076D4: 923D3D3C
	s_add_u32 s82, s82, s61                                    // 0000000076D8: 80523D52
	v_mul_lo_u32 v6, v5, s82                                   // 0000000076DC: D2850006 0000A505
	v_readlane_b32 s82, v3, 9                                  // 0000000076E4: D2890052 00011303
	s_lshr_b32 s61, s82, 24                                    // 0000000076EC: 8F3D9852
	s_and_b32 s82, s82, 0xffffff                               // 0000000076F0: 8652FF52 00FFFFFF
	s_mul_i32 s82, s82, s71                                    // 0000000076F8: 92524752
	s_mul_i32 s61, s60, s61                                    // 0000000076FC: 923D3D3C
	s_add_u32 s82, s82, s61                                    // 000000007700: 80523D52
	v_mul_lo_u32 v7, v4, s82                                   // 000000007704: D2850007 0000A504
	v_add_u32_e32 v58, v6, v7                                  // 00000000770C: 68740F06
	v_readlane_b32 s82, v3, 10                                 // 000000007710: D2890052 00011503
	s_lshr_b32 s61, s82, 24                                    // 000000007718: 8F3D9852
	s_and_b32 s82, s82, 0xffffff                               // 00000000771C: 8652FF52 00FFFFFF
	s_mul_i32 s82, s82, s71                                    // 000000007724: 92524752
	s_mul_i32 s61, s60, s61                                    // 000000007728: 923D3D3C
	s_add_u32 s82, s82, s61                                    // 00000000772C: 80523D52
	v_mul_lo_u32 v6, v5, s82                                   // 000000007730: D2850006 0000A505
	v_readlane_b32 s82, v3, 11                                 // 000000007738: D2890052 00011703
	s_lshr_b32 s61, s82, 24                                    // 000000007740: 8F3D9852
	s_and_b32 s82, s82, 0xffffff                               // 000000007744: 8652FF52 00FFFFFF
	s_mul_i32 s82, s82, s71                                    // 00000000774C: 92524752
	s_mul_i32 s61, s60, s61                                    // 000000007750: 923D3D3C
	s_add_u32 s82, s82, s61                                    // 000000007754: 80523D52
	v_mul_lo_u32 v7, v4, s82                                   // 000000007758: D2850007 0000A504
	v_add_u32_e32 v59, v6, v7                                  // 000000007760: 68760F06
	v_readlane_b32 s82, v3, 12                                 // 000000007764: D2890052 00011903
	s_lshr_b32 s61, s82, 24                                    // 00000000776C: 8F3D9852
	s_and_b32 s82, s82, 0xffffff                               // 000000007770: 8652FF52 00FFFFFF
	s_mul_i32 s82, s82, s71                                    // 000000007778: 92524752
	s_mul_i32 s61, s60, s61                                    // 00000000777C: 923D3D3C
	s_add_u32 s82, s82, s61                                    // 000000007780: 80523D52
	v_mul_lo_u32 v6, v5, s82                                   // 000000007784: D2850006 0000A505
	v_readlane_b32 s82, v3, 13                                 // 00000000778C: D2890052 00011B03
	s_lshr_b32 s61, s82, 24                                    // 000000007794: 8F3D9852
	s_and_b32 s82, s82, 0xffffff                               // 000000007798: 8652FF52 00FFFFFF
	s_mul_i32 s82, s82, s71                                    // 0000000077A0: 92524752
	s_mul_i32 s61, s60, s61                                    // 0000000077A4: 923D3D3C
	s_add_u32 s82, s82, s61                                    // 0000000077A8: 80523D52
	v_mul_lo_u32 v7, v4, s82                                   // 0000000077AC: D2850007 0000A504
	v_add_u32_e32 v60, v6, v7                                  // 0000000077B4: 68780F06
	v_readlane_b32 s82, v3, 14                                 // 0000000077B8: D2890052 00011D03
	s_lshr_b32 s61, s82, 24                                    // 0000000077C0: 8F3D9852
	s_and_b32 s82, s82, 0xffffff                               // 0000000077C4: 8652FF52 00FFFFFF
	s_mul_i32 s82, s82, s71                                    // 0000000077CC: 92524752
	s_mul_i32 s61, s60, s61                                    // 0000000077D0: 923D3D3C
	s_add_u32 s82, s82, s61                                    // 0000000077D4: 80523D52
	v_mul_lo_u32 v6, v5, s82                                   // 0000000077D8: D2850006 0000A505
	v_readlane_b32 s82, v3, 15                                 // 0000000077E0: D2890052 00011F03
	s_lshr_b32 s61, s82, 24                                    // 0000000077E8: 8F3D9852
	s_and_b32 s82, s82, 0xffffff                               // 0000000077EC: 8652FF52 00FFFFFF
	s_mul_i32 s82, s82, s71                                    // 0000000077F4: 92524752
	s_mul_i32 s61, s60, s61                                    // 0000000077F8: 923D3D3C
	s_add_u32 s82, s82, s61                                    // 0000000077FC: 80523D52
	v_mul_lo_u32 v7, v4, s82                                   // 000000007800: D2850007 0000A504
	v_add_u32_e32 v61, v6, v7                                  // 000000007808: 687A0F06
	v_readlane_b32 s82, v3, 16                                 // 00000000780C: D2890052 00012103
	s_lshr_b32 s61, s82, 24                                    // 000000007814: 8F3D9852
	s_and_b32 s82, s82, 0xffffff                               // 000000007818: 8652FF52 00FFFFFF
	s_mul_i32 s82, s82, s71                                    // 000000007820: 92524752
	s_mul_i32 s61, s60, s61                                    // 000000007824: 923D3D3C
	s_add_u32 s82, s82, s61                                    // 000000007828: 80523D52
	v_mul_lo_u32 v6, v5, s82                                   // 00000000782C: D2850006 0000A505
	v_readlane_b32 s82, v3, 17                                 // 000000007834: D2890052 00012303
	s_lshr_b32 s61, s82, 24                                    // 00000000783C: 8F3D9852
	s_and_b32 s82, s82, 0xffffff                               // 000000007840: 8652FF52 00FFFFFF
	s_mul_i32 s82, s82, s71                                    // 000000007848: 92524752
	s_mul_i32 s61, s60, s61                                    // 00000000784C: 923D3D3C
	s_add_u32 s82, s82, s61                                    // 000000007850: 80523D52
	v_mul_lo_u32 v7, v4, s82                                   // 000000007854: D2850007 0000A504
	v_add_u32_e32 v62, v6, v7                                  // 00000000785C: 687C0F06
	v_readlane_b32 s82, v3, 18                                 // 000000007860: D2890052 00012503
	s_lshr_b32 s61, s82, 24                                    // 000000007868: 8F3D9852
	s_and_b32 s82, s82, 0xffffff                               // 00000000786C: 8652FF52 00FFFFFF
	s_mul_i32 s82, s82, s71                                    // 000000007874: 92524752
	s_mul_i32 s61, s60, s61                                    // 000000007878: 923D3D3C
	s_add_u32 s82, s82, s61                                    // 00000000787C: 80523D52
	v_mul_lo_u32 v6, v5, s82                                   // 000000007880: D2850006 0000A505
	v_readlane_b32 s82, v3, 19                                 // 000000007888: D2890052 00012703
	s_lshr_b32 s61, s82, 24                                    // 000000007890: 8F3D9852
	s_and_b32 s82, s82, 0xffffff                               // 000000007894: 8652FF52 00FFFFFF
	s_mul_i32 s82, s82, s71                                    // 00000000789C: 92524752
	s_mul_i32 s61, s60, s61                                    // 0000000078A0: 923D3D3C
	s_add_u32 s82, s82, s61                                    // 0000000078A4: 80523D52
	v_mul_lo_u32 v7, v4, s82                                   // 0000000078A8: D2850007 0000A504
	v_add_u32_e32 v63, v6, v7                                  // 0000000078B0: 687E0F06
	v_readlane_b32 s82, v3, 20                                 // 0000000078B4: D2890052 00012903
	s_lshr_b32 s61, s82, 24                                    // 0000000078BC: 8F3D9852
	s_and_b32 s82, s82, 0xffffff                               // 0000000078C0: 8652FF52 00FFFFFF
	s_mul_i32 s82, s82, s71                                    // 0000000078C8: 92524752
	s_mul_i32 s61, s60, s61                                    // 0000000078CC: 923D3D3C
	s_add_u32 s82, s82, s61                                    // 0000000078D0: 80523D52
	v_mul_lo_u32 v6, v5, s82                                   // 0000000078D4: D2850006 0000A505
	v_readlane_b32 s82, v3, 21                                 // 0000000078DC: D2890052 00012B03
	s_lshr_b32 s61, s82, 24                                    // 0000000078E4: 8F3D9852
	s_and_b32 s82, s82, 0xffffff                               // 0000000078E8: 8652FF52 00FFFFFF
	s_mul_i32 s82, s82, s71                                    // 0000000078F0: 92524752
	s_mul_i32 s61, s60, s61                                    // 0000000078F4: 923D3D3C
	s_add_u32 s82, s82, s61                                    // 0000000078F8: 80523D52
	v_mul_lo_u32 v7, v4, s82                                   // 0000000078FC: D2850007 0000A504
	v_add_u32_e32 v64, v6, v7                                  // 000000007904: 68800F06
	v_readlane_b32 s82, v3, 22                                 // 000000007908: D2890052 00012D03
	s_lshr_b32 s61, s82, 24                                    // 000000007910: 8F3D9852
	s_and_b32 s82, s82, 0xffffff                               // 000000007914: 8652FF52 00FFFFFF
	s_mul_i32 s82, s82, s71                                    // 00000000791C: 92524752
	s_mul_i32 s61, s60, s61                                    // 000000007920: 923D3D3C
	s_add_u32 s82, s82, s61                                    // 000000007924: 80523D52
	v_mul_lo_u32 v6, v5, s82                                   // 000000007928: D2850006 0000A505
	v_readlane_b32 s82, v3, 23                                 // 000000007930: D2890052 00012F03
	s_lshr_b32 s61, s82, 24                                    // 000000007938: 8F3D9852
	s_and_b32 s82, s82, 0xffffff                               // 00000000793C: 8652FF52 00FFFFFF
	s_mul_i32 s82, s82, s71                                    // 000000007944: 92524752
	s_mul_i32 s61, s60, s61                                    // 000000007948: 923D3D3C
	s_add_u32 s82, s82, s61                                    // 00000000794C: 80523D52
	v_mul_lo_u32 v7, v4, s82                                   // 000000007950: D2850007 0000A504
	v_add_u32_e32 v65, v6, v7                                  // 000000007958: 68820F06
	v_and_b32_e32 v4, 31, v0                                   // 00000000795C: 2608009F
	v_lshrrev_b32_e32 v4, 1, v4                                // 000000007960: 20080881
	s_cmp_eq_u32 s88, 0                                        // 000000007964: BF068058
	s_cselect_b32 s61, 2, 4                                    // 000000007968: 853D8482
	v_mul_lo_u32 v4, v4, s61                                   // 00000000796C: D2850004 00007B04
	v_and_b32_e64 v5, v0, 1                                    // 000000007974: D1130005 00010300
	v_add_u32_e32 v4, v4, v5                                   // 00000000797C: 68080B04
	v_lshlrev_b32_e32 v4, 2, v4                                // 000000007980: 24080882
	v_add_u32_e32 v54, v54, v4                                 // 000000007984: 686C0936
	v_add_u32_e32 v55, v55, v4                                 // 000000007988: 686E0937
	v_add_u32_e32 v56, v56, v4                                 // 00000000798C: 68700938
	v_add_u32_e32 v57, v57, v4                                 // 000000007990: 68720939
	v_add_u32_e32 v58, v58, v4                                 // 000000007994: 6874093A
	v_add_u32_e32 v59, v59, v4                                 // 000000007998: 6876093B
	v_add_u32_e32 v60, v60, v4                                 // 00000000799C: 6878093C
	v_add_u32_e32 v61, v61, v4                                 // 0000000079A0: 687A093D
	v_add_u32_e32 v62, v62, v4                                 // 0000000079A4: 687C093E
	v_add_u32_e32 v63, v63, v4                                 // 0000000079A8: 687E093F
	v_add_u32_e32 v64, v64, v4                                 // 0000000079AC: 68800940
	v_add_u32_e32 v65, v65, v4                                 // 0000000079B0: 68820941
	s_waitcnt lgkmcnt(0)                                       // 0000000079B4: BF8CC07F
	s_barrier                                                  // 0000000079B8: BF8A0000
	ds_read_b32 v68, v21                                       // 0000000079BC: D86C0000 44000015
	ds_read_b32 v69, v21 offset:64                             // 0000000079C4: D86C0040 45000015
	ds_read_b32 v72, v21 offset:2176                           // 0000000079CC: D86C0880 48000015
	ds_read_b32 v73, v21 offset:2240                           // 0000000079D4: D86C08C0 49000015
	ds_read_b32 v76, v21 offset:4352                           // 0000000079DC: D86C1100 4C000015
	ds_read_b32 v77, v21 offset:4416                           // 0000000079E4: D86C1140 4D000015
	ds_read_b32 v80, v21 offset:6528                           // 0000000079EC: D86C1980 50000015
	ds_read_b32 v81, v21 offset:6592                           // 0000000079F4: D86C19C0 51000015
	ds_read_b32 v84, v21 offset:8704                           // 0000000079FC: D86C2200 54000015
	ds_read_b32 v85, v21 offset:8768                           // 000000007A04: D86C2240 55000015
	ds_read_b32 v88, v21 offset:10880                          // 000000007A0C: D86C2A80 58000015
	ds_read_b32 v89, v21 offset:10944                          // 000000007A14: D86C2AC0 59000015
	ds_read_b32 v92, v21 offset:13056                          // 000000007A1C: D86C3300 5C000015
	ds_read_b32 v93, v21 offset:13120                          // 000000007A24: D86C3340 5D000015
	ds_read_b32 v96, v21 offset:15232                          // 000000007A2C: D86C3B80 60000015
	ds_read_b32 v97, v21 offset:15296                          // 000000007A34: D86C3BC0 61000015
	ds_read_b32 v100, v21 offset:17408                         // 000000007A3C: D86C4400 64000015
	ds_read_b32 v101, v21 offset:17472                         // 000000007A44: D86C4440 65000015
	ds_read_b32 v104, v21 offset:19584                         // 000000007A4C: D86C4C80 68000015
	ds_read_b32 v105, v21 offset:19648                         // 000000007A54: D86C4CC0 69000015
	ds_read_b32 v108, v21 offset:21760                         // 000000007A5C: D86C5500 6C000015
	ds_read_b32 v109, v21 offset:21824                         // 000000007A64: D86C5540 6D000015
	ds_read_b32 v112, v21 offset:23936                         // 000000007A6C: D86C5D80 70000015
	ds_read_b32 v113, v21 offset:24000                         // 000000007A74: D86C5DC0 71000015
	s_waitcnt lgkmcnt(0)                                       // 000000007A7C: BF8CC07F
	s_mov_b32 s36, -1                                          // 000000007A80: BEA400C1
	s_mov_b32 s37, -1                                          // 000000007A84: BEA500C1
	v_mov_b32_e32 v7, 0                                        // 000000007A88: 7E0E0280
	s_mov_b64 exec, s[36:37]                                   // 000000007A8C: BEFE0124
	v_mov_b32_e32 v6, v54                                      // 000000007A90: 7E0C0336
	s_mov_b64 s[60:61], 0                                      // 000000007A94: BEBC0180
	v_readlane_b32 s82, v3, 0                                  // 000000007A98: D2890052 00010103
	s_and_b32 s82, s82, 0xffffff                               // 000000007AA0: 8652FF52 00FFFFFF
	s_cmp_lt_u32 s82, s66                                      // 000000007AA8: BF0A4252
	s_cselect_b32 s20, s36, s60                                // 000000007AAC: 85143C24
	v_readlane_b32 s82, v3, 1                                  // 000000007AB0: D2890052 00010303
	s_and_b32 s82, s82, 0xffffff                               // 000000007AB8: 8652FF52 00FFFFFF
	s_cmp_lt_u32 s82, s66                                      // 000000007AC0: BF0A4252
	s_cselect_b32 s21, s36, s60                                // 000000007AC4: 85153C24
	s_mov_b64 exec, s[20:21]                                   // 000000007AC8: BEFE0114
	global_atomic_add_f32 v6, v68, s[8:9]                      // 000000007ACC: DD348000 00084406
	global_atomic_add_f32 v6, v72, s[8:9] offset:256           // 000000007AD4: DD348100 00084806
	s_mov_b64 exec, s[36:37]                                   // 000000007ADC: BEFE0124
	v_mov_b32_e32 v6, v55                                      // 000000007AE0: 7E0C0337
	s_mov_b64 s[60:61], 0                                      // 000000007AE4: BEBC0180
	v_readlane_b32 s82, v3, 2                                  // 000000007AE8: D2890052 00010503
	s_and_b32 s82, s82, 0xffffff                               // 000000007AF0: 8652FF52 00FFFFFF
	s_cmp_lt_u32 s82, s66                                      // 000000007AF8: BF0A4252
	s_cselect_b32 s20, s36, s60                                // 000000007AFC: 85143C24
	v_readlane_b32 s82, v3, 3                                  // 000000007B00: D2890052 00010703
	s_and_b32 s82, s82, 0xffffff                               // 000000007B08: 8652FF52 00FFFFFF
	s_cmp_lt_u32 s82, s66                                      // 000000007B10: BF0A4252
	s_cselect_b32 s21, s36, s60                                // 000000007B14: 85153C24
	s_mov_b64 exec, s[20:21]                                   // 000000007B18: BEFE0114
	global_atomic_add_f32 v6, v69, s[8:9]                      // 000000007B1C: DD348000 00084506
	global_atomic_add_f32 v6, v73, s[8:9] offset:256           // 000000007B24: DD348100 00084906
	s_mov_b64 exec, s[36:37]                                   // 000000007B2C: BEFE0124
	v_mov_b32_e32 v6, v56                                      // 000000007B30: 7E0C0338
	s_mov_b64 s[60:61], 0                                      // 000000007B34: BEBC0180
	v_readlane_b32 s82, v3, 4                                  // 000000007B38: D2890052 00010903
	s_and_b32 s82, s82, 0xffffff                               // 000000007B40: 8652FF52 00FFFFFF
	s_cmp_lt_u32 s82, s66                                      // 000000007B48: BF0A4252
	s_cselect_b32 s20, s36, s60                                // 000000007B4C: 85143C24
	v_readlane_b32 s82, v3, 5                                  // 000000007B50: D2890052 00010B03
	s_and_b32 s82, s82, 0xffffff                               // 000000007B58: 8652FF52 00FFFFFF
	s_cmp_lt_u32 s82, s66                                      // 000000007B60: BF0A4252
	s_cselect_b32 s21, s36, s60                                // 000000007B64: 85153C24
	s_mov_b64 exec, s[20:21]                                   // 000000007B68: BEFE0114
	global_atomic_add_f32 v6, v76, s[8:9]                      // 000000007B6C: DD348000 00084C06
	global_atomic_add_f32 v6, v80, s[8:9] offset:256           // 000000007B74: DD348100 00085006
	s_mov_b64 exec, s[36:37]                                   // 000000007B7C: BEFE0124
	v_mov_b32_e32 v6, v57                                      // 000000007B80: 7E0C0339
	s_mov_b64 s[60:61], 0                                      // 000000007B84: BEBC0180
	v_readlane_b32 s82, v3, 6                                  // 000000007B88: D2890052 00010D03
	s_and_b32 s82, s82, 0xffffff                               // 000000007B90: 8652FF52 00FFFFFF
	s_cmp_lt_u32 s82, s66                                      // 000000007B98: BF0A4252
	s_cselect_b32 s20, s36, s60                                // 000000007B9C: 85143C24
	v_readlane_b32 s82, v3, 7                                  // 000000007BA0: D2890052 00010F03
	s_and_b32 s82, s82, 0xffffff                               // 000000007BA8: 8652FF52 00FFFFFF
	s_cmp_lt_u32 s82, s66                                      // 000000007BB0: BF0A4252
	s_cselect_b32 s21, s36, s60                                // 000000007BB4: 85153C24
	s_mov_b64 exec, s[20:21]                                   // 000000007BB8: BEFE0114
	global_atomic_add_f32 v6, v77, s[8:9]                      // 000000007BBC: DD348000 00084D06
	global_atomic_add_f32 v6, v81, s[8:9] offset:256           // 000000007BC4: DD348100 00085106
	s_mov_b64 exec, s[36:37]                                   // 000000007BCC: BEFE0124
	v_mov_b32_e32 v6, v58                                      // 000000007BD0: 7E0C033A
	s_mov_b64 s[60:61], 0                                      // 000000007BD4: BEBC0180
	v_readlane_b32 s82, v3, 8                                  // 000000007BD8: D2890052 00011103
	s_and_b32 s82, s82, 0xffffff                               // 000000007BE0: 8652FF52 00FFFFFF
	s_cmp_lt_u32 s82, s66                                      // 000000007BE8: BF0A4252
	s_cselect_b32 s20, s36, s60                                // 000000007BEC: 85143C24
	v_readlane_b32 s82, v3, 9                                  // 000000007BF0: D2890052 00011303
	s_and_b32 s82, s82, 0xffffff                               // 000000007BF8: 8652FF52 00FFFFFF
	s_cmp_lt_u32 s82, s66                                      // 000000007C00: BF0A4252
	s_cselect_b32 s21, s36, s60                                // 000000007C04: 85153C24
	s_mov_b64 exec, s[20:21]                                   // 000000007C08: BEFE0114
	global_atomic_add_f32 v6, v84, s[8:9]                      // 000000007C0C: DD348000 00085406
	global_atomic_add_f32 v6, v88, s[8:9] offset:256           // 000000007C14: DD348100 00085806
	s_mov_b64 exec, s[36:37]                                   // 000000007C1C: BEFE0124
	v_mov_b32_e32 v6, v59                                      // 000000007C20: 7E0C033B
	s_mov_b64 s[60:61], 0                                      // 000000007C24: BEBC0180
	v_readlane_b32 s82, v3, 10                                 // 000000007C28: D2890052 00011503
	s_and_b32 s82, s82, 0xffffff                               // 000000007C30: 8652FF52 00FFFFFF
	s_cmp_lt_u32 s82, s66                                      // 000000007C38: BF0A4252
	s_cselect_b32 s20, s36, s60                                // 000000007C3C: 85143C24
	v_readlane_b32 s82, v3, 11                                 // 000000007C40: D2890052 00011703
	s_and_b32 s82, s82, 0xffffff                               // 000000007C48: 8652FF52 00FFFFFF
	s_cmp_lt_u32 s82, s66                                      // 000000007C50: BF0A4252
	s_cselect_b32 s21, s36, s60                                // 000000007C54: 85153C24
	s_mov_b64 exec, s[20:21]                                   // 000000007C58: BEFE0114
	global_atomic_add_f32 v6, v85, s[8:9]                      // 000000007C5C: DD348000 00085506
	global_atomic_add_f32 v6, v89, s[8:9] offset:256           // 000000007C64: DD348100 00085906
	s_mov_b64 exec, s[36:37]                                   // 000000007C6C: BEFE0124
	v_mov_b32_e32 v6, v60                                      // 000000007C70: 7E0C033C
	s_mov_b64 s[60:61], 0                                      // 000000007C74: BEBC0180
	v_readlane_b32 s82, v3, 12                                 // 000000007C78: D2890052 00011903
	s_and_b32 s82, s82, 0xffffff                               // 000000007C80: 8652FF52 00FFFFFF
	s_cmp_lt_u32 s82, s66                                      // 000000007C88: BF0A4252
	s_cselect_b32 s20, s36, s60                                // 000000007C8C: 85143C24
	v_readlane_b32 s82, v3, 13                                 // 000000007C90: D2890052 00011B03
	s_and_b32 s82, s82, 0xffffff                               // 000000007C98: 8652FF52 00FFFFFF
	s_cmp_lt_u32 s82, s66                                      // 000000007CA0: BF0A4252
	s_cselect_b32 s21, s36, s60                                // 000000007CA4: 85153C24
	s_mov_b64 exec, s[20:21]                                   // 000000007CA8: BEFE0114
	global_atomic_add_f32 v6, v92, s[8:9]                      // 000000007CAC: DD348000 00085C06
	global_atomic_add_f32 v6, v96, s[8:9] offset:256           // 000000007CB4: DD348100 00086006
	s_mov_b64 exec, s[36:37]                                   // 000000007CBC: BEFE0124
	v_mov_b32_e32 v6, v61                                      // 000000007CC0: 7E0C033D
	s_mov_b64 s[60:61], 0                                      // 000000007CC4: BEBC0180
	v_readlane_b32 s82, v3, 14                                 // 000000007CC8: D2890052 00011D03
	s_and_b32 s82, s82, 0xffffff                               // 000000007CD0: 8652FF52 00FFFFFF
	s_cmp_lt_u32 s82, s66                                      // 000000007CD8: BF0A4252
	s_cselect_b32 s20, s36, s60                                // 000000007CDC: 85143C24
	v_readlane_b32 s82, v3, 15                                 // 000000007CE0: D2890052 00011F03
	s_and_b32 s82, s82, 0xffffff                               // 000000007CE8: 8652FF52 00FFFFFF
	s_cmp_lt_u32 s82, s66                                      // 000000007CF0: BF0A4252
	s_cselect_b32 s21, s36, s60                                // 000000007CF4: 85153C24
	s_mov_b64 exec, s[20:21]                                   // 000000007CF8: BEFE0114
	global_atomic_add_f32 v6, v93, s[8:9]                      // 000000007CFC: DD348000 00085D06
	global_atomic_add_f32 v6, v97, s[8:9] offset:256           // 000000007D04: DD348100 00086106
	s_mov_b64 exec, s[36:37]                                   // 000000007D0C: BEFE0124
	v_mov_b32_e32 v6, v62                                      // 000000007D10: 7E0C033E
	s_mov_b64 s[60:61], 0                                      // 000000007D14: BEBC0180
	v_readlane_b32 s82, v3, 16                                 // 000000007D18: D2890052 00012103
	s_and_b32 s82, s82, 0xffffff                               // 000000007D20: 8652FF52 00FFFFFF
	s_cmp_lt_u32 s82, s66                                      // 000000007D28: BF0A4252
	s_cselect_b32 s20, s36, s60                                // 000000007D2C: 85143C24
	v_readlane_b32 s82, v3, 17                                 // 000000007D30: D2890052 00012303
	s_and_b32 s82, s82, 0xffffff                               // 000000007D38: 8652FF52 00FFFFFF
	s_cmp_lt_u32 s82, s66                                      // 000000007D40: BF0A4252
	s_cselect_b32 s21, s36, s60                                // 000000007D44: 85153C24
	s_mov_b64 exec, s[20:21]                                   // 000000007D48: BEFE0114
	global_atomic_add_f32 v6, v100, s[8:9]                     // 000000007D4C: DD348000 00086406
	global_atomic_add_f32 v6, v104, s[8:9] offset:256          // 000000007D54: DD348100 00086806
	s_mov_b64 exec, s[36:37]                                   // 000000007D5C: BEFE0124
	v_mov_b32_e32 v6, v63                                      // 000000007D60: 7E0C033F
	s_mov_b64 s[60:61], 0                                      // 000000007D64: BEBC0180
	v_readlane_b32 s82, v3, 18                                 // 000000007D68: D2890052 00012503
	s_and_b32 s82, s82, 0xffffff                               // 000000007D70: 8652FF52 00FFFFFF
	s_cmp_lt_u32 s82, s66                                      // 000000007D78: BF0A4252
	s_cselect_b32 s20, s36, s60                                // 000000007D7C: 85143C24
	v_readlane_b32 s82, v3, 19                                 // 000000007D80: D2890052 00012703
	s_and_b32 s82, s82, 0xffffff                               // 000000007D88: 8652FF52 00FFFFFF
	s_cmp_lt_u32 s82, s66                                      // 000000007D90: BF0A4252
	s_cselect_b32 s21, s36, s60                                // 000000007D94: 85153C24
	s_mov_b64 exec, s[20:21]                                   // 000000007D98: BEFE0114
	global_atomic_add_f32 v6, v101, s[8:9]                     // 000000007D9C: DD348000 00086506
	global_atomic_add_f32 v6, v105, s[8:9] offset:256          // 000000007DA4: DD348100 00086906
	s_mov_b64 exec, s[36:37]                                   // 000000007DAC: BEFE0124
	v_mov_b32_e32 v6, v64                                      // 000000007DB0: 7E0C0340
	s_mov_b64 s[60:61], 0                                      // 000000007DB4: BEBC0180
	v_readlane_b32 s82, v3, 20                                 // 000000007DB8: D2890052 00012903
	s_and_b32 s82, s82, 0xffffff                               // 000000007DC0: 8652FF52 00FFFFFF
	s_cmp_lt_u32 s82, s66                                      // 000000007DC8: BF0A4252
	s_cselect_b32 s20, s36, s60                                // 000000007DCC: 85143C24
	v_readlane_b32 s82, v3, 21                                 // 000000007DD0: D2890052 00012B03
	s_and_b32 s82, s82, 0xffffff                               // 000000007DD8: 8652FF52 00FFFFFF
	s_cmp_lt_u32 s82, s66                                      // 000000007DE0: BF0A4252
	s_cselect_b32 s21, s36, s60                                // 000000007DE4: 85153C24
	s_mov_b64 exec, s[20:21]                                   // 000000007DE8: BEFE0114
	global_atomic_add_f32 v6, v108, s[8:9]                     // 000000007DEC: DD348000 00086C06
	global_atomic_add_f32 v6, v112, s[8:9] offset:256          // 000000007DF4: DD348100 00087006
	s_mov_b64 exec, s[36:37]                                   // 000000007DFC: BEFE0124
	v_mov_b32_e32 v6, v65                                      // 000000007E00: 7E0C0341
	s_mov_b64 s[60:61], 0                                      // 000000007E04: BEBC0180
	v_readlane_b32 s82, v3, 22                                 // 000000007E08: D2890052 00012D03
	s_and_b32 s82, s82, 0xffffff                               // 000000007E10: 8652FF52 00FFFFFF
	s_cmp_lt_u32 s82, s66                                      // 000000007E18: BF0A4252
	s_cselect_b32 s20, s36, s60                                // 000000007E1C: 85143C24
	v_readlane_b32 s82, v3, 23                                 // 000000007E20: D2890052 00012F03
	s_and_b32 s82, s82, 0xffffff                               // 000000007E28: 8652FF52 00FFFFFF
	s_cmp_lt_u32 s82, s66                                      // 000000007E30: BF0A4252
	s_cselect_b32 s21, s36, s60                                // 000000007E34: 85153C24
	s_mov_b64 exec, s[20:21]                                   // 000000007E38: BEFE0114
	global_atomic_add_f32 v6, v109, s[8:9]                     // 000000007E3C: DD348000 00086D06
	global_atomic_add_f32 v6, v113, s[8:9] offset:256          // 000000007E44: DD348100 00087106
	s_mov_b64 exec, s[36:37]                                   // 000000007E4C: BEFE0124
	ds_write_b64 v20, v[70:71]                                 // 000000007E50: D89A0000 00004614
	ds_write_b64 v20, v[74:75] offset:4352                     // 000000007E58: D89A1100 00004A14
	ds_write_b64 v20, v[78:79] offset:8704                     // 000000007E60: D89A2200 00004E14
	ds_write_b64 v20, v[82:83] offset:13056                    // 000000007E68: D89A3300 00005214
	ds_write_b64 v20, v[86:87] offset:17408                    // 000000007E70: D89A4400 00005614
	ds_write_b64 v20, v[90:91] offset:21760                    // 000000007E78: D89A5500 00005A14
	ds_write_b64 v20, v[94:95] offset:2176                     // 000000007E80: D89A0880 00005E14
	ds_write_b64 v20, v[98:99] offset:6528                     // 000000007E88: D89A1980 00006214
	ds_write_b64 v20, v[102:103] offset:10880                  // 000000007E90: D89A2A80 00006614
	ds_write_b64 v20, v[106:107] offset:15232                  // 000000007E98: D89A3B80 00006A14
	ds_write_b64 v20, v[110:111] offset:19584                  // 000000007EA0: D89A4C80 00006E14
	ds_write_b64 v20, v[114:115] offset:23936                  // 000000007EA8: D89A5D80 00007214
	s_waitcnt lgkmcnt(0)                                       // 000000007EB0: BF8CC07F
	s_barrier                                                  // 000000007EB4: BF8A0000
	ds_read_b32 v70, v21                                       // 000000007EB8: D86C0000 46000015
	ds_read_b32 v71, v21 offset:64                             // 000000007EC0: D86C0040 47000015
	ds_read_b32 v74, v21 offset:2176                           // 000000007EC8: D86C0880 4A000015
	ds_read_b32 v75, v21 offset:2240                           // 000000007ED0: D86C08C0 4B000015
	ds_read_b32 v78, v21 offset:4352                           // 000000007ED8: D86C1100 4E000015
	ds_read_b32 v79, v21 offset:4416                           // 000000007EE0: D86C1140 4F000015
	ds_read_b32 v82, v21 offset:6528                           // 000000007EE8: D86C1980 52000015
	ds_read_b32 v83, v21 offset:6592                           // 000000007EF0: D86C19C0 53000015
	ds_read_b32 v86, v21 offset:8704                           // 000000007EF8: D86C2200 56000015
	ds_read_b32 v87, v21 offset:8768                           // 000000007F00: D86C2240 57000015
	ds_read_b32 v90, v21 offset:10880                          // 000000007F08: D86C2A80 5A000015
	ds_read_b32 v91, v21 offset:10944                          // 000000007F10: D86C2AC0 5B000015
	ds_read_b32 v94, v21 offset:13056                          // 000000007F18: D86C3300 5E000015
	ds_read_b32 v95, v21 offset:13120                          // 000000007F20: D86C3340 5F000015
	ds_read_b32 v98, v21 offset:15232                          // 000000007F28: D86C3B80 62000015
	ds_read_b32 v99, v21 offset:15296                          // 000000007F30: D86C3BC0 63000015
	ds_read_b32 v102, v21 offset:17408                         // 000000007F38: D86C4400 66000015
	ds_read_b32 v103, v21 offset:17472                         // 000000007F40: D86C4440 67000015
	ds_read_b32 v106, v21 offset:19584                         // 000000007F48: D86C4C80 6A000015
	ds_read_b32 v107, v21 offset:19648                         // 000000007F50: D86C4CC0 6B000015
	ds_read_b32 v110, v21 offset:21760                         // 000000007F58: D86C5500 6E000015
	ds_read_b32 v111, v21 offset:21824                         // 000000007F60: D86C5540 6F000015
	ds_read_b32 v114, v21 offset:23936                         // 000000007F68: D86C5D80 72000015
	ds_read_b32 v115, v21 offset:24000                         // 000000007F70: D86C5DC0 73000015
	s_waitcnt lgkmcnt(0)                                       // 000000007F78: BF8CC07F
	v_mov_b32_e32 v7, 0                                        // 000000007F7C: 7E0E0280
	s_mov_b64 exec, s[36:37]                                   // 000000007F80: BEFE0124
	v_mov_b32_e32 v6, v54                                      // 000000007F84: 7E0C0336
	s_mov_b64 s[60:61], 0                                      // 000000007F88: BEBC0180
	v_readlane_b32 s82, v3, 0                                  // 000000007F8C: D2890052 00010103
	s_and_b32 s82, s82, 0xffffff                               // 000000007F94: 8652FF52 00FFFFFF
	s_cmp_lt_u32 s82, s66                                      // 000000007F9C: BF0A4252
	s_cselect_b32 s20, s36, s60                                // 000000007FA0: 85143C24
	v_readlane_b32 s82, v3, 1                                  // 000000007FA4: D2890052 00010303
	s_and_b32 s82, s82, 0xffffff                               // 000000007FAC: 8652FF52 00FFFFFF
	s_cmp_lt_u32 s82, s66                                      // 000000007FB4: BF0A4252
	s_cselect_b32 s21, s36, s60                                // 000000007FB8: 85153C24
	s_mov_b64 exec, s[20:21]                                   // 000000007FBC: BEFE0114
	global_atomic_add_f32 v6, v70, s[8:9] offset:8             // 000000007FC0: DD348008 00084606
	global_atomic_add_f32 v6, v74, s[8:9] offset:264           // 000000007FC8: DD348108 00084A06
	s_mov_b64 exec, s[36:37]                                   // 000000007FD0: BEFE0124
	v_mov_b32_e32 v6, v55                                      // 000000007FD4: 7E0C0337
	s_mov_b64 s[60:61], 0                                      // 000000007FD8: BEBC0180
	v_readlane_b32 s82, v3, 2                                  // 000000007FDC: D2890052 00010503
	s_and_b32 s82, s82, 0xffffff                               // 000000007FE4: 8652FF52 00FFFFFF
	s_cmp_lt_u32 s82, s66                                      // 000000007FEC: BF0A4252
	s_cselect_b32 s20, s36, s60                                // 000000007FF0: 85143C24
	v_readlane_b32 s82, v3, 3                                  // 000000007FF4: D2890052 00010703
	s_and_b32 s82, s82, 0xffffff                               // 000000007FFC: 8652FF52 00FFFFFF
	s_cmp_lt_u32 s82, s66                                      // 000000008004: BF0A4252
	s_cselect_b32 s21, s36, s60                                // 000000008008: 85153C24
	s_mov_b64 exec, s[20:21]                                   // 00000000800C: BEFE0114
	global_atomic_add_f32 v6, v71, s[8:9] offset:8             // 000000008010: DD348008 00084706
	global_atomic_add_f32 v6, v75, s[8:9] offset:264           // 000000008018: DD348108 00084B06
	s_mov_b64 exec, s[36:37]                                   // 000000008020: BEFE0124
	v_mov_b32_e32 v6, v56                                      // 000000008024: 7E0C0338
	s_mov_b64 s[60:61], 0                                      // 000000008028: BEBC0180
	v_readlane_b32 s82, v3, 4                                  // 00000000802C: D2890052 00010903
	s_and_b32 s82, s82, 0xffffff                               // 000000008034: 8652FF52 00FFFFFF
	s_cmp_lt_u32 s82, s66                                      // 00000000803C: BF0A4252
	s_cselect_b32 s20, s36, s60                                // 000000008040: 85143C24
	v_readlane_b32 s82, v3, 5                                  // 000000008044: D2890052 00010B03
	s_and_b32 s82, s82, 0xffffff                               // 00000000804C: 8652FF52 00FFFFFF
	s_cmp_lt_u32 s82, s66                                      // 000000008054: BF0A4252
	s_cselect_b32 s21, s36, s60                                // 000000008058: 85153C24
	s_mov_b64 exec, s[20:21]                                   // 00000000805C: BEFE0114
	global_atomic_add_f32 v6, v78, s[8:9] offset:8             // 000000008060: DD348008 00084E06
	global_atomic_add_f32 v6, v82, s[8:9] offset:264           // 000000008068: DD348108 00085206
	s_mov_b64 exec, s[36:37]                                   // 000000008070: BEFE0124
	v_mov_b32_e32 v6, v57                                      // 000000008074: 7E0C0339
	s_mov_b64 s[60:61], 0                                      // 000000008078: BEBC0180
	v_readlane_b32 s82, v3, 6                                  // 00000000807C: D2890052 00010D03
	s_and_b32 s82, s82, 0xffffff                               // 000000008084: 8652FF52 00FFFFFF
	s_cmp_lt_u32 s82, s66                                      // 00000000808C: BF0A4252
	s_cselect_b32 s20, s36, s60                                // 000000008090: 85143C24
	v_readlane_b32 s82, v3, 7                                  // 000000008094: D2890052 00010F03
	s_and_b32 s82, s82, 0xffffff                               // 00000000809C: 8652FF52 00FFFFFF
	s_cmp_lt_u32 s82, s66                                      // 0000000080A4: BF0A4252
	s_cselect_b32 s21, s36, s60                                // 0000000080A8: 85153C24
	s_mov_b64 exec, s[20:21]                                   // 0000000080AC: BEFE0114
	global_atomic_add_f32 v6, v79, s[8:9] offset:8             // 0000000080B0: DD348008 00084F06
	global_atomic_add_f32 v6, v83, s[8:9] offset:264           // 0000000080B8: DD348108 00085306
	s_mov_b64 exec, s[36:37]                                   // 0000000080C0: BEFE0124
	v_mov_b32_e32 v6, v58                                      // 0000000080C4: 7E0C033A
	s_mov_b64 s[60:61], 0                                      // 0000000080C8: BEBC0180
	v_readlane_b32 s82, v3, 8                                  // 0000000080CC: D2890052 00011103
	s_and_b32 s82, s82, 0xffffff                               // 0000000080D4: 8652FF52 00FFFFFF
	s_cmp_lt_u32 s82, s66                                      // 0000000080DC: BF0A4252
	s_cselect_b32 s20, s36, s60                                // 0000000080E0: 85143C24
	v_readlane_b32 s82, v3, 9                                  // 0000000080E4: D2890052 00011303
	s_and_b32 s82, s82, 0xffffff                               // 0000000080EC: 8652FF52 00FFFFFF
	s_cmp_lt_u32 s82, s66                                      // 0000000080F4: BF0A4252
	s_cselect_b32 s21, s36, s60                                // 0000000080F8: 85153C24
	s_mov_b64 exec, s[20:21]                                   // 0000000080FC: BEFE0114
	global_atomic_add_f32 v6, v86, s[8:9] offset:8             // 000000008100: DD348008 00085606
	global_atomic_add_f32 v6, v90, s[8:9] offset:264           // 000000008108: DD348108 00085A06
	s_mov_b64 exec, s[36:37]                                   // 000000008110: BEFE0124
	v_mov_b32_e32 v6, v59                                      // 000000008114: 7E0C033B
	s_mov_b64 s[60:61], 0                                      // 000000008118: BEBC0180
	v_readlane_b32 s82, v3, 10                                 // 00000000811C: D2890052 00011503
	s_and_b32 s82, s82, 0xffffff                               // 000000008124: 8652FF52 00FFFFFF
	s_cmp_lt_u32 s82, s66                                      // 00000000812C: BF0A4252
	s_cselect_b32 s20, s36, s60                                // 000000008130: 85143C24
	v_readlane_b32 s82, v3, 11                                 // 000000008134: D2890052 00011703
	s_and_b32 s82, s82, 0xffffff                               // 00000000813C: 8652FF52 00FFFFFF
	s_cmp_lt_u32 s82, s66                                      // 000000008144: BF0A4252
	s_cselect_b32 s21, s36, s60                                // 000000008148: 85153C24
	s_mov_b64 exec, s[20:21]                                   // 00000000814C: BEFE0114
	global_atomic_add_f32 v6, v87, s[8:9] offset:8             // 000000008150: DD348008 00085706
	global_atomic_add_f32 v6, v91, s[8:9] offset:264           // 000000008158: DD348108 00085B06
	s_mov_b64 exec, s[36:37]                                   // 000000008160: BEFE0124
	v_mov_b32_e32 v6, v60                                      // 000000008164: 7E0C033C
	s_mov_b64 s[60:61], 0                                      // 000000008168: BEBC0180
	v_readlane_b32 s82, v3, 12                                 // 00000000816C: D2890052 00011903
	s_and_b32 s82, s82, 0xffffff                               // 000000008174: 8652FF52 00FFFFFF
	s_cmp_lt_u32 s82, s66                                      // 00000000817C: BF0A4252
	s_cselect_b32 s20, s36, s60                                // 000000008180: 85143C24
	v_readlane_b32 s82, v3, 13                                 // 000000008184: D2890052 00011B03
	s_and_b32 s82, s82, 0xffffff                               // 00000000818C: 8652FF52 00FFFFFF
	s_cmp_lt_u32 s82, s66                                      // 000000008194: BF0A4252
	s_cselect_b32 s21, s36, s60                                // 000000008198: 85153C24
	s_mov_b64 exec, s[20:21]                                   // 00000000819C: BEFE0114
	global_atomic_add_f32 v6, v94, s[8:9] offset:8             // 0000000081A0: DD348008 00085E06
	global_atomic_add_f32 v6, v98, s[8:9] offset:264           // 0000000081A8: DD348108 00086206
	s_mov_b64 exec, s[36:37]                                   // 0000000081B0: BEFE0124
	v_mov_b32_e32 v6, v61                                      // 0000000081B4: 7E0C033D
	s_mov_b64 s[60:61], 0                                      // 0000000081B8: BEBC0180
	v_readlane_b32 s82, v3, 14                                 // 0000000081BC: D2890052 00011D03
	s_and_b32 s82, s82, 0xffffff                               // 0000000081C4: 8652FF52 00FFFFFF
	s_cmp_lt_u32 s82, s66                                      // 0000000081CC: BF0A4252
	s_cselect_b32 s20, s36, s60                                // 0000000081D0: 85143C24
	v_readlane_b32 s82, v3, 15                                 // 0000000081D4: D2890052 00011F03
	s_and_b32 s82, s82, 0xffffff                               // 0000000081DC: 8652FF52 00FFFFFF
	s_cmp_lt_u32 s82, s66                                      // 0000000081E4: BF0A4252
	s_cselect_b32 s21, s36, s60                                // 0000000081E8: 85153C24
	s_mov_b64 exec, s[20:21]                                   // 0000000081EC: BEFE0114
	global_atomic_add_f32 v6, v95, s[8:9] offset:8             // 0000000081F0: DD348008 00085F06
	global_atomic_add_f32 v6, v99, s[8:9] offset:264           // 0000000081F8: DD348108 00086306
	s_mov_b64 exec, s[36:37]                                   // 000000008200: BEFE0124
	v_mov_b32_e32 v6, v62                                      // 000000008204: 7E0C033E
	s_mov_b64 s[60:61], 0                                      // 000000008208: BEBC0180
	v_readlane_b32 s82, v3, 16                                 // 00000000820C: D2890052 00012103
	s_and_b32 s82, s82, 0xffffff                               // 000000008214: 8652FF52 00FFFFFF
	s_cmp_lt_u32 s82, s66                                      // 00000000821C: BF0A4252
	s_cselect_b32 s20, s36, s60                                // 000000008220: 85143C24
	v_readlane_b32 s82, v3, 17                                 // 000000008224: D2890052 00012303
	s_and_b32 s82, s82, 0xffffff                               // 00000000822C: 8652FF52 00FFFFFF
	s_cmp_lt_u32 s82, s66                                      // 000000008234: BF0A4252
	s_cselect_b32 s21, s36, s60                                // 000000008238: 85153C24
	s_mov_b64 exec, s[20:21]                                   // 00000000823C: BEFE0114
	global_atomic_add_f32 v6, v102, s[8:9] offset:8            // 000000008240: DD348008 00086606
	global_atomic_add_f32 v6, v106, s[8:9] offset:264          // 000000008248: DD348108 00086A06
	s_mov_b64 exec, s[36:37]                                   // 000000008250: BEFE0124
	v_mov_b32_e32 v6, v63                                      // 000000008254: 7E0C033F
	s_mov_b64 s[60:61], 0                                      // 000000008258: BEBC0180
	v_readlane_b32 s82, v3, 18                                 // 00000000825C: D2890052 00012503
	s_and_b32 s82, s82, 0xffffff                               // 000000008264: 8652FF52 00FFFFFF
	s_cmp_lt_u32 s82, s66                                      // 00000000826C: BF0A4252
	s_cselect_b32 s20, s36, s60                                // 000000008270: 85143C24
	v_readlane_b32 s82, v3, 19                                 // 000000008274: D2890052 00012703
	s_and_b32 s82, s82, 0xffffff                               // 00000000827C: 8652FF52 00FFFFFF
	s_cmp_lt_u32 s82, s66                                      // 000000008284: BF0A4252
	s_cselect_b32 s21, s36, s60                                // 000000008288: 85153C24
	s_mov_b64 exec, s[20:21]                                   // 00000000828C: BEFE0114
	global_atomic_add_f32 v6, v103, s[8:9] offset:8            // 000000008290: DD348008 00086706
	global_atomic_add_f32 v6, v107, s[8:9] offset:264          // 000000008298: DD348108 00086B06
	s_mov_b64 exec, s[36:37]                                   // 0000000082A0: BEFE0124
	v_mov_b32_e32 v6, v64                                      // 0000000082A4: 7E0C0340
	s_mov_b64 s[60:61], 0                                      // 0000000082A8: BEBC0180
	v_readlane_b32 s82, v3, 20                                 // 0000000082AC: D2890052 00012903
	s_and_b32 s82, s82, 0xffffff                               // 0000000082B4: 8652FF52 00FFFFFF
	s_cmp_lt_u32 s82, s66                                      // 0000000082BC: BF0A4252
	s_cselect_b32 s20, s36, s60                                // 0000000082C0: 85143C24
	v_readlane_b32 s82, v3, 21                                 // 0000000082C4: D2890052 00012B03
	s_and_b32 s82, s82, 0xffffff                               // 0000000082CC: 8652FF52 00FFFFFF
	s_cmp_lt_u32 s82, s66                                      // 0000000082D4: BF0A4252
	s_cselect_b32 s21, s36, s60                                // 0000000082D8: 85153C24
	s_mov_b64 exec, s[20:21]                                   // 0000000082DC: BEFE0114
	global_atomic_add_f32 v6, v110, s[8:9] offset:8            // 0000000082E0: DD348008 00086E06
	global_atomic_add_f32 v6, v114, s[8:9] offset:264          // 0000000082E8: DD348108 00087206
	s_mov_b64 exec, s[36:37]                                   // 0000000082F0: BEFE0124
	v_mov_b32_e32 v6, v65                                      // 0000000082F4: 7E0C0341
	s_mov_b64 s[60:61], 0                                      // 0000000082F8: BEBC0180
	v_readlane_b32 s82, v3, 22                                 // 0000000082FC: D2890052 00012D03
	s_and_b32 s82, s82, 0xffffff                               // 000000008304: 8652FF52 00FFFFFF
	s_cmp_lt_u32 s82, s66                                      // 00000000830C: BF0A4252
	s_cselect_b32 s20, s36, s60                                // 000000008310: 85143C24
	v_readlane_b32 s82, v3, 23                                 // 000000008314: D2890052 00012F03
	s_and_b32 s82, s82, 0xffffff                               // 00000000831C: 8652FF52 00FFFFFF
	s_cmp_lt_u32 s82, s66                                      // 000000008324: BF0A4252
	s_cselect_b32 s21, s36, s60                                // 000000008328: 85153C24
	s_mov_b64 exec, s[20:21]                                   // 00000000832C: BEFE0114
	global_atomic_add_f32 v6, v111, s[8:9] offset:8            // 000000008330: DD348008 00086F06
	global_atomic_add_f32 v6, v115, s[8:9] offset:264          // 000000008338: DD348108 00087306
	s_mov_b64 exec, s[36:37]                                   // 000000008340: BEFE0124
	ds_write_b64 v20, v[116:117]                               // 000000008344: D89A0000 00007414
	ds_write_b64 v20, v[120:121] offset:4352                   // 00000000834C: D89A1100 00007814
	ds_write_b64 v20, v[124:125] offset:8704                   // 000000008354: D89A2200 00007C14
	ds_write_b64 v20, v[128:129] offset:13056                  // 00000000835C: D89A3300 00008014
	ds_write_b64 v20, v[132:133] offset:17408                  // 000000008364: D89A4400 00008414
	ds_write_b64 v20, v[136:137] offset:21760                  // 00000000836C: D89A5500 00008814
	ds_write_b64 v20, v[140:141] offset:2176                   // 000000008374: D89A0880 00008C14
	ds_write_b64 v20, v[144:145] offset:6528                   // 00000000837C: D89A1980 00009014
	ds_write_b64 v20, v[148:149] offset:10880                  // 000000008384: D89A2A80 00009414
	ds_write_b64 v20, v[152:153] offset:15232                  // 00000000838C: D89A3B80 00009814
	ds_write_b64 v20, v[156:157] offset:19584                  // 000000008394: D89A4C80 00009C14
	ds_write_b64 v20, v[160:161] offset:23936                  // 00000000839C: D89A5D80 0000A014
	s_waitcnt lgkmcnt(0)                                       // 0000000083A4: BF8CC07F
	s_barrier                                                  // 0000000083A8: BF8A0000
	ds_read_b32 v116, v21                                      // 0000000083AC: D86C0000 74000015
	ds_read_b32 v117, v21 offset:64                            // 0000000083B4: D86C0040 75000015
	ds_read_b32 v120, v21 offset:2176                          // 0000000083BC: D86C0880 78000015
	ds_read_b32 v121, v21 offset:2240                          // 0000000083C4: D86C08C0 79000015
	ds_read_b32 v124, v21 offset:4352                          // 0000000083CC: D86C1100 7C000015
	ds_read_b32 v125, v21 offset:4416                          // 0000000083D4: D86C1140 7D000015
	ds_read_b32 v128, v21 offset:6528                          // 0000000083DC: D86C1980 80000015
	ds_read_b32 v129, v21 offset:6592                          // 0000000083E4: D86C19C0 81000015
	ds_read_b32 v132, v21 offset:8704                          // 0000000083EC: D86C2200 84000015
	ds_read_b32 v133, v21 offset:8768                          // 0000000083F4: D86C2240 85000015
	ds_read_b32 v136, v21 offset:10880                         // 0000000083FC: D86C2A80 88000015
	ds_read_b32 v137, v21 offset:10944                         // 000000008404: D86C2AC0 89000015
	ds_read_b32 v140, v21 offset:13056                         // 00000000840C: D86C3300 8C000015
	ds_read_b32 v141, v21 offset:13120                         // 000000008414: D86C3340 8D000015
	ds_read_b32 v144, v21 offset:15232                         // 00000000841C: D86C3B80 90000015
	ds_read_b32 v145, v21 offset:15296                         // 000000008424: D86C3BC0 91000015
	ds_read_b32 v148, v21 offset:17408                         // 00000000842C: D86C4400 94000015
	ds_read_b32 v149, v21 offset:17472                         // 000000008434: D86C4440 95000015
	ds_read_b32 v152, v21 offset:19584                         // 00000000843C: D86C4C80 98000015
	ds_read_b32 v153, v21 offset:19648                         // 000000008444: D86C4CC0 99000015
	ds_read_b32 v156, v21 offset:21760                         // 00000000844C: D86C5500 9C000015
	ds_read_b32 v157, v21 offset:21824                         // 000000008454: D86C5540 9D000015
	ds_read_b32 v160, v21 offset:23936                         // 00000000845C: D86C5D80 A0000015
	ds_read_b32 v161, v21 offset:24000                         // 000000008464: D86C5DC0 A1000015
	s_mul_i32 s60, s65, 4                                      // 00000000846C: 923C8441
	s_add_u32 s8, s60, s8                                      // 000000008470: 8008083C
	s_addc_u32 s9, 0, s9                                       // 000000008474: 82090980
	s_waitcnt lgkmcnt(0)                                       // 000000008478: BF8CC07F
	v_mov_b32_e32 v7, 0                                        // 00000000847C: 7E0E0280
	s_mov_b64 exec, s[36:37]                                   // 000000008480: BEFE0124
	v_mov_b32_e32 v6, v54                                      // 000000008484: 7E0C0336
	s_mov_b64 s[60:61], 0                                      // 000000008488: BEBC0180
	v_readlane_b32 s82, v3, 0                                  // 00000000848C: D2890052 00010103
	s_and_b32 s82, s82, 0xffffff                               // 000000008494: 8652FF52 00FFFFFF
	s_cmp_lt_u32 s82, s66                                      // 00000000849C: BF0A4252
	s_cselect_b32 s20, s36, s60                                // 0000000084A0: 85143C24
	v_readlane_b32 s82, v3, 1                                  // 0000000084A4: D2890052 00010303
	s_and_b32 s82, s82, 0xffffff                               // 0000000084AC: 8652FF52 00FFFFFF
	s_cmp_lt_u32 s82, s66                                      // 0000000084B4: BF0A4252
	s_cselect_b32 s21, s36, s60                                // 0000000084B8: 85153C24
	s_mov_b64 exec, s[20:21]                                   // 0000000084BC: BEFE0114
	global_atomic_add_f32 v6, v116, s[8:9]                     // 0000000084C0: DD348000 00087406
	global_atomic_add_f32 v6, v120, s[8:9] offset:256          // 0000000084C8: DD348100 00087806
	s_mov_b64 exec, s[36:37]                                   // 0000000084D0: BEFE0124
	v_mov_b32_e32 v6, v55                                      // 0000000084D4: 7E0C0337
	s_mov_b64 s[60:61], 0                                      // 0000000084D8: BEBC0180
	v_readlane_b32 s82, v3, 2                                  // 0000000084DC: D2890052 00010503
	s_and_b32 s82, s82, 0xffffff                               // 0000000084E4: 8652FF52 00FFFFFF
	s_cmp_lt_u32 s82, s66                                      // 0000000084EC: BF0A4252
	s_cselect_b32 s20, s36, s60                                // 0000000084F0: 85143C24
	v_readlane_b32 s82, v3, 3                                  // 0000000084F4: D2890052 00010703
	s_and_b32 s82, s82, 0xffffff                               // 0000000084FC: 8652FF52 00FFFFFF
	s_cmp_lt_u32 s82, s66                                      // 000000008504: BF0A4252
	s_cselect_b32 s21, s36, s60                                // 000000008508: 85153C24
	s_mov_b64 exec, s[20:21]                                   // 00000000850C: BEFE0114
	global_atomic_add_f32 v6, v117, s[8:9]                     // 000000008510: DD348000 00087506
	global_atomic_add_f32 v6, v121, s[8:9] offset:256          // 000000008518: DD348100 00087906
	s_mov_b64 exec, s[36:37]                                   // 000000008520: BEFE0124
	v_mov_b32_e32 v6, v56                                      // 000000008524: 7E0C0338
	s_mov_b64 s[60:61], 0                                      // 000000008528: BEBC0180
	v_readlane_b32 s82, v3, 4                                  // 00000000852C: D2890052 00010903
	s_and_b32 s82, s82, 0xffffff                               // 000000008534: 8652FF52 00FFFFFF
	s_cmp_lt_u32 s82, s66                                      // 00000000853C: BF0A4252
	s_cselect_b32 s20, s36, s60                                // 000000008540: 85143C24
	v_readlane_b32 s82, v3, 5                                  // 000000008544: D2890052 00010B03
	s_and_b32 s82, s82, 0xffffff                               // 00000000854C: 8652FF52 00FFFFFF
	s_cmp_lt_u32 s82, s66                                      // 000000008554: BF0A4252
	s_cselect_b32 s21, s36, s60                                // 000000008558: 85153C24
	s_mov_b64 exec, s[20:21]                                   // 00000000855C: BEFE0114
	global_atomic_add_f32 v6, v124, s[8:9]                     // 000000008560: DD348000 00087C06
	global_atomic_add_f32 v6, v128, s[8:9] offset:256          // 000000008568: DD348100 00088006
	s_mov_b64 exec, s[36:37]                                   // 000000008570: BEFE0124
	v_mov_b32_e32 v6, v57                                      // 000000008574: 7E0C0339
	s_mov_b64 s[60:61], 0                                      // 000000008578: BEBC0180
	v_readlane_b32 s82, v3, 6                                  // 00000000857C: D2890052 00010D03
	s_and_b32 s82, s82, 0xffffff                               // 000000008584: 8652FF52 00FFFFFF
	s_cmp_lt_u32 s82, s66                                      // 00000000858C: BF0A4252
	s_cselect_b32 s20, s36, s60                                // 000000008590: 85143C24
	v_readlane_b32 s82, v3, 7                                  // 000000008594: D2890052 00010F03
	s_and_b32 s82, s82, 0xffffff                               // 00000000859C: 8652FF52 00FFFFFF
	s_cmp_lt_u32 s82, s66                                      // 0000000085A4: BF0A4252
	s_cselect_b32 s21, s36, s60                                // 0000000085A8: 85153C24
	s_mov_b64 exec, s[20:21]                                   // 0000000085AC: BEFE0114
	global_atomic_add_f32 v6, v125, s[8:9]                     // 0000000085B0: DD348000 00087D06
	global_atomic_add_f32 v6, v129, s[8:9] offset:256          // 0000000085B8: DD348100 00088106
	s_mov_b64 exec, s[36:37]                                   // 0000000085C0: BEFE0124
	v_mov_b32_e32 v6, v58                                      // 0000000085C4: 7E0C033A
	s_mov_b64 s[60:61], 0                                      // 0000000085C8: BEBC0180
	v_readlane_b32 s82, v3, 8                                  // 0000000085CC: D2890052 00011103
	s_and_b32 s82, s82, 0xffffff                               // 0000000085D4: 8652FF52 00FFFFFF
	s_cmp_lt_u32 s82, s66                                      // 0000000085DC: BF0A4252
	s_cselect_b32 s20, s36, s60                                // 0000000085E0: 85143C24
	v_readlane_b32 s82, v3, 9                                  // 0000000085E4: D2890052 00011303
	s_and_b32 s82, s82, 0xffffff                               // 0000000085EC: 8652FF52 00FFFFFF
	s_cmp_lt_u32 s82, s66                                      // 0000000085F4: BF0A4252
	s_cselect_b32 s21, s36, s60                                // 0000000085F8: 85153C24
	s_mov_b64 exec, s[20:21]                                   // 0000000085FC: BEFE0114
	global_atomic_add_f32 v6, v132, s[8:9]                     // 000000008600: DD348000 00088406
	global_atomic_add_f32 v6, v136, s[8:9] offset:256          // 000000008608: DD348100 00088806
	s_mov_b64 exec, s[36:37]                                   // 000000008610: BEFE0124
	v_mov_b32_e32 v6, v59                                      // 000000008614: 7E0C033B
	s_mov_b64 s[60:61], 0                                      // 000000008618: BEBC0180
	v_readlane_b32 s82, v3, 10                                 // 00000000861C: D2890052 00011503
	s_and_b32 s82, s82, 0xffffff                               // 000000008624: 8652FF52 00FFFFFF
	s_cmp_lt_u32 s82, s66                                      // 00000000862C: BF0A4252
	s_cselect_b32 s20, s36, s60                                // 000000008630: 85143C24
	v_readlane_b32 s82, v3, 11                                 // 000000008634: D2890052 00011703
	s_and_b32 s82, s82, 0xffffff                               // 00000000863C: 8652FF52 00FFFFFF
	s_cmp_lt_u32 s82, s66                                      // 000000008644: BF0A4252
	s_cselect_b32 s21, s36, s60                                // 000000008648: 85153C24
	s_mov_b64 exec, s[20:21]                                   // 00000000864C: BEFE0114
	global_atomic_add_f32 v6, v133, s[8:9]                     // 000000008650: DD348000 00088506
	global_atomic_add_f32 v6, v137, s[8:9] offset:256          // 000000008658: DD348100 00088906
	s_mov_b64 exec, s[36:37]                                   // 000000008660: BEFE0124
	v_mov_b32_e32 v6, v60                                      // 000000008664: 7E0C033C
	s_mov_b64 s[60:61], 0                                      // 000000008668: BEBC0180
	v_readlane_b32 s82, v3, 12                                 // 00000000866C: D2890052 00011903
	s_and_b32 s82, s82, 0xffffff                               // 000000008674: 8652FF52 00FFFFFF
	s_cmp_lt_u32 s82, s66                                      // 00000000867C: BF0A4252
	s_cselect_b32 s20, s36, s60                                // 000000008680: 85143C24
	v_readlane_b32 s82, v3, 13                                 // 000000008684: D2890052 00011B03
	s_and_b32 s82, s82, 0xffffff                               // 00000000868C: 8652FF52 00FFFFFF
	s_cmp_lt_u32 s82, s66                                      // 000000008694: BF0A4252
	s_cselect_b32 s21, s36, s60                                // 000000008698: 85153C24
	s_mov_b64 exec, s[20:21]                                   // 00000000869C: BEFE0114
	global_atomic_add_f32 v6, v140, s[8:9]                     // 0000000086A0: DD348000 00088C06
	global_atomic_add_f32 v6, v144, s[8:9] offset:256          // 0000000086A8: DD348100 00089006
	s_mov_b64 exec, s[36:37]                                   // 0000000086B0: BEFE0124
	v_mov_b32_e32 v6, v61                                      // 0000000086B4: 7E0C033D
	s_mov_b64 s[60:61], 0                                      // 0000000086B8: BEBC0180
	v_readlane_b32 s82, v3, 14                                 // 0000000086BC: D2890052 00011D03
	s_and_b32 s82, s82, 0xffffff                               // 0000000086C4: 8652FF52 00FFFFFF
	s_cmp_lt_u32 s82, s66                                      // 0000000086CC: BF0A4252
	s_cselect_b32 s20, s36, s60                                // 0000000086D0: 85143C24
	v_readlane_b32 s82, v3, 15                                 // 0000000086D4: D2890052 00011F03
	s_and_b32 s82, s82, 0xffffff                               // 0000000086DC: 8652FF52 00FFFFFF
	s_cmp_lt_u32 s82, s66                                      // 0000000086E4: BF0A4252
	s_cselect_b32 s21, s36, s60                                // 0000000086E8: 85153C24
	s_mov_b64 exec, s[20:21]                                   // 0000000086EC: BEFE0114
	global_atomic_add_f32 v6, v141, s[8:9]                     // 0000000086F0: DD348000 00088D06
	global_atomic_add_f32 v6, v145, s[8:9] offset:256          // 0000000086F8: DD348100 00089106
	s_mov_b64 exec, s[36:37]                                   // 000000008700: BEFE0124
	v_mov_b32_e32 v6, v62                                      // 000000008704: 7E0C033E
	s_mov_b64 s[60:61], 0                                      // 000000008708: BEBC0180
	v_readlane_b32 s82, v3, 16                                 // 00000000870C: D2890052 00012103
	s_and_b32 s82, s82, 0xffffff                               // 000000008714: 8652FF52 00FFFFFF
	s_cmp_lt_u32 s82, s66                                      // 00000000871C: BF0A4252
	s_cselect_b32 s20, s36, s60                                // 000000008720: 85143C24
	v_readlane_b32 s82, v3, 17                                 // 000000008724: D2890052 00012303
	s_and_b32 s82, s82, 0xffffff                               // 00000000872C: 8652FF52 00FFFFFF
	s_cmp_lt_u32 s82, s66                                      // 000000008734: BF0A4252
	s_cselect_b32 s21, s36, s60                                // 000000008738: 85153C24
	s_mov_b64 exec, s[20:21]                                   // 00000000873C: BEFE0114
	global_atomic_add_f32 v6, v148, s[8:9]                     // 000000008740: DD348000 00089406
	global_atomic_add_f32 v6, v152, s[8:9] offset:256          // 000000008748: DD348100 00089806
	s_mov_b64 exec, s[36:37]                                   // 000000008750: BEFE0124
	v_mov_b32_e32 v6, v63                                      // 000000008754: 7E0C033F
	s_mov_b64 s[60:61], 0                                      // 000000008758: BEBC0180
	v_readlane_b32 s82, v3, 18                                 // 00000000875C: D2890052 00012503
	s_and_b32 s82, s82, 0xffffff                               // 000000008764: 8652FF52 00FFFFFF
	s_cmp_lt_u32 s82, s66                                      // 00000000876C: BF0A4252
	s_cselect_b32 s20, s36, s60                                // 000000008770: 85143C24
	v_readlane_b32 s82, v3, 19                                 // 000000008774: D2890052 00012703
	s_and_b32 s82, s82, 0xffffff                               // 00000000877C: 8652FF52 00FFFFFF
	s_cmp_lt_u32 s82, s66                                      // 000000008784: BF0A4252
	s_cselect_b32 s21, s36, s60                                // 000000008788: 85153C24
	s_mov_b64 exec, s[20:21]                                   // 00000000878C: BEFE0114
	global_atomic_add_f32 v6, v149, s[8:9]                     // 000000008790: DD348000 00089506
	global_atomic_add_f32 v6, v153, s[8:9] offset:256          // 000000008798: DD348100 00089906
	s_mov_b64 exec, s[36:37]                                   // 0000000087A0: BEFE0124
	v_mov_b32_e32 v6, v64                                      // 0000000087A4: 7E0C0340
	s_mov_b64 s[60:61], 0                                      // 0000000087A8: BEBC0180
	v_readlane_b32 s82, v3, 20                                 // 0000000087AC: D2890052 00012903
	s_and_b32 s82, s82, 0xffffff                               // 0000000087B4: 8652FF52 00FFFFFF
	s_cmp_lt_u32 s82, s66                                      // 0000000087BC: BF0A4252
	s_cselect_b32 s20, s36, s60                                // 0000000087C0: 85143C24
	v_readlane_b32 s82, v3, 21                                 // 0000000087C4: D2890052 00012B03
	s_and_b32 s82, s82, 0xffffff                               // 0000000087CC: 8652FF52 00FFFFFF
	s_cmp_lt_u32 s82, s66                                      // 0000000087D4: BF0A4252
	s_cselect_b32 s21, s36, s60                                // 0000000087D8: 85153C24
	s_mov_b64 exec, s[20:21]                                   // 0000000087DC: BEFE0114
	global_atomic_add_f32 v6, v156, s[8:9]                     // 0000000087E0: DD348000 00089C06
	global_atomic_add_f32 v6, v160, s[8:9] offset:256          // 0000000087E8: DD348100 0008A006
	s_mov_b64 exec, s[36:37]                                   // 0000000087F0: BEFE0124
	v_mov_b32_e32 v6, v65                                      // 0000000087F4: 7E0C0341
	s_mov_b64 s[60:61], 0                                      // 0000000087F8: BEBC0180
	v_readlane_b32 s82, v3, 22                                 // 0000000087FC: D2890052 00012D03
	s_and_b32 s82, s82, 0xffffff                               // 000000008804: 8652FF52 00FFFFFF
	s_cmp_lt_u32 s82, s66                                      // 00000000880C: BF0A4252
	s_cselect_b32 s20, s36, s60                                // 000000008810: 85143C24
	v_readlane_b32 s82, v3, 23                                 // 000000008814: D2890052 00012F03
	s_and_b32 s82, s82, 0xffffff                               // 00000000881C: 8652FF52 00FFFFFF
	s_cmp_lt_u32 s82, s66                                      // 000000008824: BF0A4252
	s_cselect_b32 s21, s36, s60                                // 000000008828: 85153C24
	s_mov_b64 exec, s[20:21]                                   // 00000000882C: BEFE0114
	global_atomic_add_f32 v6, v157, s[8:9]                     // 000000008830: DD348000 00089D06
	global_atomic_add_f32 v6, v161, s[8:9] offset:256          // 000000008838: DD348100 0008A106
	s_mov_b64 exec, s[36:37]                                   // 000000008840: BEFE0124
	ds_write_b64 v20, v[118:119]                               // 000000008844: D89A0000 00007614
	ds_write_b64 v20, v[122:123] offset:4352                   // 00000000884C: D89A1100 00007A14
	ds_write_b64 v20, v[126:127] offset:8704                   // 000000008854: D89A2200 00007E14
	ds_write_b64 v20, v[130:131] offset:13056                  // 00000000885C: D89A3300 00008214
	ds_write_b64 v20, v[134:135] offset:17408                  // 000000008864: D89A4400 00008614
	ds_write_b64 v20, v[138:139] offset:21760                  // 00000000886C: D89A5500 00008A14
	ds_write_b64 v20, v[142:143] offset:2176                   // 000000008874: D89A0880 00008E14
	ds_write_b64 v20, v[146:147] offset:6528                   // 00000000887C: D89A1980 00009214
	ds_write_b64 v20, v[150:151] offset:10880                  // 000000008884: D89A2A80 00009614
	ds_write_b64 v20, v[154:155] offset:15232                  // 00000000888C: D89A3B80 00009A14
	ds_write_b64 v20, v[158:159] offset:19584                  // 000000008894: D89A4C80 00009E14
	ds_write_b64 v20, v[162:163] offset:23936                  // 00000000889C: D89A5D80 0000A214
	s_waitcnt lgkmcnt(0)                                       // 0000000088A4: BF8CC07F
	s_barrier                                                  // 0000000088A8: BF8A0000
	ds_read_b32 v118, v21                                      // 0000000088AC: D86C0000 76000015
	ds_read_b32 v119, v21 offset:64                            // 0000000088B4: D86C0040 77000015
	ds_read_b32 v122, v21 offset:2176                          // 0000000088BC: D86C0880 7A000015
	ds_read_b32 v123, v21 offset:2240                          // 0000000088C4: D86C08C0 7B000015
	ds_read_b32 v126, v21 offset:4352                          // 0000000088CC: D86C1100 7E000015
	ds_read_b32 v127, v21 offset:4416                          // 0000000088D4: D86C1140 7F000015
	ds_read_b32 v130, v21 offset:6528                          // 0000000088DC: D86C1980 82000015
	ds_read_b32 v131, v21 offset:6592                          // 0000000088E4: D86C19C0 83000015
	ds_read_b32 v134, v21 offset:8704                          // 0000000088EC: D86C2200 86000015
	ds_read_b32 v135, v21 offset:8768                          // 0000000088F4: D86C2240 87000015
	ds_read_b32 v138, v21 offset:10880                         // 0000000088FC: D86C2A80 8A000015
	ds_read_b32 v139, v21 offset:10944                         // 000000008904: D86C2AC0 8B000015
	ds_read_b32 v142, v21 offset:13056                         // 00000000890C: D86C3300 8E000015
	ds_read_b32 v143, v21 offset:13120                         // 000000008914: D86C3340 8F000015
	ds_read_b32 v146, v21 offset:15232                         // 00000000891C: D86C3B80 92000015
	ds_read_b32 v147, v21 offset:15296                         // 000000008924: D86C3BC0 93000015
	ds_read_b32 v150, v21 offset:17408                         // 00000000892C: D86C4400 96000015
	ds_read_b32 v151, v21 offset:17472                         // 000000008934: D86C4440 97000015
	ds_read_b32 v154, v21 offset:19584                         // 00000000893C: D86C4C80 9A000015
	ds_read_b32 v155, v21 offset:19648                         // 000000008944: D86C4CC0 9B000015
	ds_read_b32 v158, v21 offset:21760                         // 00000000894C: D86C5500 9E000015
	ds_read_b32 v159, v21 offset:21824                         // 000000008954: D86C5540 9F000015
	ds_read_b32 v162, v21 offset:23936                         // 00000000895C: D86C5D80 A2000015
	ds_read_b32 v163, v21 offset:24000                         // 000000008964: D86C5DC0 A3000015
	s_waitcnt lgkmcnt(0)                                       // 00000000896C: BF8CC07F
	v_mov_b32_e32 v7, 0                                        // 000000008970: 7E0E0280
	s_mov_b64 exec, s[36:37]                                   // 000000008974: BEFE0124
	v_mov_b32_e32 v6, v54                                      // 000000008978: 7E0C0336
	s_mov_b64 s[60:61], 0                                      // 00000000897C: BEBC0180
	v_readlane_b32 s82, v3, 0                                  // 000000008980: D2890052 00010103
	s_and_b32 s82, s82, 0xffffff                               // 000000008988: 8652FF52 00FFFFFF
	s_cmp_lt_u32 s82, s66                                      // 000000008990: BF0A4252
	s_cselect_b32 s20, s36, s60                                // 000000008994: 85143C24
	v_readlane_b32 s82, v3, 1                                  // 000000008998: D2890052 00010303
	s_and_b32 s82, s82, 0xffffff                               // 0000000089A0: 8652FF52 00FFFFFF
	s_cmp_lt_u32 s82, s66                                      // 0000000089A8: BF0A4252
	s_cselect_b32 s21, s36, s60                                // 0000000089AC: 85153C24
	s_mov_b64 exec, s[20:21]                                   // 0000000089B0: BEFE0114
	global_atomic_add_f32 v6, v118, s[8:9] offset:8            // 0000000089B4: DD348008 00087606
	global_atomic_add_f32 v6, v122, s[8:9] offset:264          // 0000000089BC: DD348108 00087A06
	s_mov_b64 exec, s[36:37]                                   // 0000000089C4: BEFE0124
	v_mov_b32_e32 v6, v55                                      // 0000000089C8: 7E0C0337
	s_mov_b64 s[60:61], 0                                      // 0000000089CC: BEBC0180
	v_readlane_b32 s82, v3, 2                                  // 0000000089D0: D2890052 00010503
	s_and_b32 s82, s82, 0xffffff                               // 0000000089D8: 8652FF52 00FFFFFF
	s_cmp_lt_u32 s82, s66                                      // 0000000089E0: BF0A4252
	s_cselect_b32 s20, s36, s60                                // 0000000089E4: 85143C24
	v_readlane_b32 s82, v3, 3                                  // 0000000089E8: D2890052 00010703
	s_and_b32 s82, s82, 0xffffff                               // 0000000089F0: 8652FF52 00FFFFFF
	s_cmp_lt_u32 s82, s66                                      // 0000000089F8: BF0A4252
	s_cselect_b32 s21, s36, s60                                // 0000000089FC: 85153C24
	s_mov_b64 exec, s[20:21]                                   // 000000008A00: BEFE0114
	global_atomic_add_f32 v6, v119, s[8:9] offset:8            // 000000008A04: DD348008 00087706
	global_atomic_add_f32 v6, v123, s[8:9] offset:264          // 000000008A0C: DD348108 00087B06
	s_mov_b64 exec, s[36:37]                                   // 000000008A14: BEFE0124
	v_mov_b32_e32 v6, v56                                      // 000000008A18: 7E0C0338
	s_mov_b64 s[60:61], 0                                      // 000000008A1C: BEBC0180
	v_readlane_b32 s82, v3, 4                                  // 000000008A20: D2890052 00010903
	s_and_b32 s82, s82, 0xffffff                               // 000000008A28: 8652FF52 00FFFFFF
	s_cmp_lt_u32 s82, s66                                      // 000000008A30: BF0A4252
	s_cselect_b32 s20, s36, s60                                // 000000008A34: 85143C24
	v_readlane_b32 s82, v3, 5                                  // 000000008A38: D2890052 00010B03
	s_and_b32 s82, s82, 0xffffff                               // 000000008A40: 8652FF52 00FFFFFF
	s_cmp_lt_u32 s82, s66                                      // 000000008A48: BF0A4252
	s_cselect_b32 s21, s36, s60                                // 000000008A4C: 85153C24
	s_mov_b64 exec, s[20:21]                                   // 000000008A50: BEFE0114
	global_atomic_add_f32 v6, v126, s[8:9] offset:8            // 000000008A54: DD348008 00087E06
	global_atomic_add_f32 v6, v130, s[8:9] offset:264          // 000000008A5C: DD348108 00088206
	s_mov_b64 exec, s[36:37]                                   // 000000008A64: BEFE0124
	v_mov_b32_e32 v6, v57                                      // 000000008A68: 7E0C0339
	s_mov_b64 s[60:61], 0                                      // 000000008A6C: BEBC0180
	v_readlane_b32 s82, v3, 6                                  // 000000008A70: D2890052 00010D03
	s_and_b32 s82, s82, 0xffffff                               // 000000008A78: 8652FF52 00FFFFFF
	s_cmp_lt_u32 s82, s66                                      // 000000008A80: BF0A4252
	s_cselect_b32 s20, s36, s60                                // 000000008A84: 85143C24
	v_readlane_b32 s82, v3, 7                                  // 000000008A88: D2890052 00010F03
	s_and_b32 s82, s82, 0xffffff                               // 000000008A90: 8652FF52 00FFFFFF
	s_cmp_lt_u32 s82, s66                                      // 000000008A98: BF0A4252
	s_cselect_b32 s21, s36, s60                                // 000000008A9C: 85153C24
	s_mov_b64 exec, s[20:21]                                   // 000000008AA0: BEFE0114
	global_atomic_add_f32 v6, v127, s[8:9] offset:8            // 000000008AA4: DD348008 00087F06
	global_atomic_add_f32 v6, v131, s[8:9] offset:264          // 000000008AAC: DD348108 00088306
	s_mov_b64 exec, s[36:37]                                   // 000000008AB4: BEFE0124
	v_mov_b32_e32 v6, v58                                      // 000000008AB8: 7E0C033A
	s_mov_b64 s[60:61], 0                                      // 000000008ABC: BEBC0180
	v_readlane_b32 s82, v3, 8                                  // 000000008AC0: D2890052 00011103
	s_and_b32 s82, s82, 0xffffff                               // 000000008AC8: 8652FF52 00FFFFFF
	s_cmp_lt_u32 s82, s66                                      // 000000008AD0: BF0A4252
	s_cselect_b32 s20, s36, s60                                // 000000008AD4: 85143C24
	v_readlane_b32 s82, v3, 9                                  // 000000008AD8: D2890052 00011303
	s_and_b32 s82, s82, 0xffffff                               // 000000008AE0: 8652FF52 00FFFFFF
	s_cmp_lt_u32 s82, s66                                      // 000000008AE8: BF0A4252
	s_cselect_b32 s21, s36, s60                                // 000000008AEC: 85153C24
	s_mov_b64 exec, s[20:21]                                   // 000000008AF0: BEFE0114
	global_atomic_add_f32 v6, v134, s[8:9] offset:8            // 000000008AF4: DD348008 00088606
	global_atomic_add_f32 v6, v138, s[8:9] offset:264          // 000000008AFC: DD348108 00088A06
	s_mov_b64 exec, s[36:37]                                   // 000000008B04: BEFE0124
	v_mov_b32_e32 v6, v59                                      // 000000008B08: 7E0C033B
	s_mov_b64 s[60:61], 0                                      // 000000008B0C: BEBC0180
	v_readlane_b32 s82, v3, 10                                 // 000000008B10: D2890052 00011503
	s_and_b32 s82, s82, 0xffffff                               // 000000008B18: 8652FF52 00FFFFFF
	s_cmp_lt_u32 s82, s66                                      // 000000008B20: BF0A4252
	s_cselect_b32 s20, s36, s60                                // 000000008B24: 85143C24
	v_readlane_b32 s82, v3, 11                                 // 000000008B28: D2890052 00011703
	s_and_b32 s82, s82, 0xffffff                               // 000000008B30: 8652FF52 00FFFFFF
	s_cmp_lt_u32 s82, s66                                      // 000000008B38: BF0A4252
	s_cselect_b32 s21, s36, s60                                // 000000008B3C: 85153C24
	s_mov_b64 exec, s[20:21]                                   // 000000008B40: BEFE0114
	global_atomic_add_f32 v6, v135, s[8:9] offset:8            // 000000008B44: DD348008 00088706
	global_atomic_add_f32 v6, v139, s[8:9] offset:264          // 000000008B4C: DD348108 00088B06
	s_mov_b64 exec, s[36:37]                                   // 000000008B54: BEFE0124
	v_mov_b32_e32 v6, v60                                      // 000000008B58: 7E0C033C
	s_mov_b64 s[60:61], 0                                      // 000000008B5C: BEBC0180
	v_readlane_b32 s82, v3, 12                                 // 000000008B60: D2890052 00011903
	s_and_b32 s82, s82, 0xffffff                               // 000000008B68: 8652FF52 00FFFFFF
	s_cmp_lt_u32 s82, s66                                      // 000000008B70: BF0A4252
	s_cselect_b32 s20, s36, s60                                // 000000008B74: 85143C24
	v_readlane_b32 s82, v3, 13                                 // 000000008B78: D2890052 00011B03
	s_and_b32 s82, s82, 0xffffff                               // 000000008B80: 8652FF52 00FFFFFF
	s_cmp_lt_u32 s82, s66                                      // 000000008B88: BF0A4252
	s_cselect_b32 s21, s36, s60                                // 000000008B8C: 85153C24
	s_mov_b64 exec, s[20:21]                                   // 000000008B90: BEFE0114
	global_atomic_add_f32 v6, v142, s[8:9] offset:8            // 000000008B94: DD348008 00088E06
	global_atomic_add_f32 v6, v146, s[8:9] offset:264          // 000000008B9C: DD348108 00089206
	s_mov_b64 exec, s[36:37]                                   // 000000008BA4: BEFE0124
	v_mov_b32_e32 v6, v61                                      // 000000008BA8: 7E0C033D
	s_mov_b64 s[60:61], 0                                      // 000000008BAC: BEBC0180
	v_readlane_b32 s82, v3, 14                                 // 000000008BB0: D2890052 00011D03
	s_and_b32 s82, s82, 0xffffff                               // 000000008BB8: 8652FF52 00FFFFFF
	s_cmp_lt_u32 s82, s66                                      // 000000008BC0: BF0A4252
	s_cselect_b32 s20, s36, s60                                // 000000008BC4: 85143C24
	v_readlane_b32 s82, v3, 15                                 // 000000008BC8: D2890052 00011F03
	s_and_b32 s82, s82, 0xffffff                               // 000000008BD0: 8652FF52 00FFFFFF
	s_cmp_lt_u32 s82, s66                                      // 000000008BD8: BF0A4252
	s_cselect_b32 s21, s36, s60                                // 000000008BDC: 85153C24
	s_mov_b64 exec, s[20:21]                                   // 000000008BE0: BEFE0114
	global_atomic_add_f32 v6, v143, s[8:9] offset:8            // 000000008BE4: DD348008 00088F06
	global_atomic_add_f32 v6, v147, s[8:9] offset:264          // 000000008BEC: DD348108 00089306
	s_mov_b64 exec, s[36:37]                                   // 000000008BF4: BEFE0124
	v_mov_b32_e32 v6, v62                                      // 000000008BF8: 7E0C033E
	s_mov_b64 s[60:61], 0                                      // 000000008BFC: BEBC0180
	v_readlane_b32 s82, v3, 16                                 // 000000008C00: D2890052 00012103
	s_and_b32 s82, s82, 0xffffff                               // 000000008C08: 8652FF52 00FFFFFF
	s_cmp_lt_u32 s82, s66                                      // 000000008C10: BF0A4252
	s_cselect_b32 s20, s36, s60                                // 000000008C14: 85143C24
	v_readlane_b32 s82, v3, 17                                 // 000000008C18: D2890052 00012303
	s_and_b32 s82, s82, 0xffffff                               // 000000008C20: 8652FF52 00FFFFFF
	s_cmp_lt_u32 s82, s66                                      // 000000008C28: BF0A4252
	s_cselect_b32 s21, s36, s60                                // 000000008C2C: 85153C24
	s_mov_b64 exec, s[20:21]                                   // 000000008C30: BEFE0114
	global_atomic_add_f32 v6, v150, s[8:9] offset:8            // 000000008C34: DD348008 00089606
	global_atomic_add_f32 v6, v154, s[8:9] offset:264          // 000000008C3C: DD348108 00089A06
	s_mov_b64 exec, s[36:37]                                   // 000000008C44: BEFE0124
	v_mov_b32_e32 v6, v63                                      // 000000008C48: 7E0C033F
	s_mov_b64 s[60:61], 0                                      // 000000008C4C: BEBC0180
	v_readlane_b32 s82, v3, 18                                 // 000000008C50: D2890052 00012503
	s_and_b32 s82, s82, 0xffffff                               // 000000008C58: 8652FF52 00FFFFFF
	s_cmp_lt_u32 s82, s66                                      // 000000008C60: BF0A4252
	s_cselect_b32 s20, s36, s60                                // 000000008C64: 85143C24
	v_readlane_b32 s82, v3, 19                                 // 000000008C68: D2890052 00012703
	s_and_b32 s82, s82, 0xffffff                               // 000000008C70: 8652FF52 00FFFFFF
	s_cmp_lt_u32 s82, s66                                      // 000000008C78: BF0A4252
	s_cselect_b32 s21, s36, s60                                // 000000008C7C: 85153C24
	s_mov_b64 exec, s[20:21]                                   // 000000008C80: BEFE0114
	global_atomic_add_f32 v6, v151, s[8:9] offset:8            // 000000008C84: DD348008 00089706
	global_atomic_add_f32 v6, v155, s[8:9] offset:264          // 000000008C8C: DD348108 00089B06
	s_mov_b64 exec, s[36:37]                                   // 000000008C94: BEFE0124
	v_mov_b32_e32 v6, v64                                      // 000000008C98: 7E0C0340
	s_mov_b64 s[60:61], 0                                      // 000000008C9C: BEBC0180
	v_readlane_b32 s82, v3, 20                                 // 000000008CA0: D2890052 00012903
	s_and_b32 s82, s82, 0xffffff                               // 000000008CA8: 8652FF52 00FFFFFF
	s_cmp_lt_u32 s82, s66                                      // 000000008CB0: BF0A4252
	s_cselect_b32 s20, s36, s60                                // 000000008CB4: 85143C24
	v_readlane_b32 s82, v3, 21                                 // 000000008CB8: D2890052 00012B03
	s_and_b32 s82, s82, 0xffffff                               // 000000008CC0: 8652FF52 00FFFFFF
	s_cmp_lt_u32 s82, s66                                      // 000000008CC8: BF0A4252
	s_cselect_b32 s21, s36, s60                                // 000000008CCC: 85153C24
	s_mov_b64 exec, s[20:21]                                   // 000000008CD0: BEFE0114
	global_atomic_add_f32 v6, v158, s[8:9] offset:8            // 000000008CD4: DD348008 00089E06
	global_atomic_add_f32 v6, v162, s[8:9] offset:264          // 000000008CDC: DD348108 0008A206
	s_mov_b64 exec, s[36:37]                                   // 000000008CE4: BEFE0124
	v_mov_b32_e32 v6, v65                                      // 000000008CE8: 7E0C0341
	s_mov_b64 s[60:61], 0                                      // 000000008CEC: BEBC0180
	v_readlane_b32 s82, v3, 22                                 // 000000008CF0: D2890052 00012D03
	s_and_b32 s82, s82, 0xffffff                               // 000000008CF8: 8652FF52 00FFFFFF
	s_cmp_lt_u32 s82, s66                                      // 000000008D00: BF0A4252
	s_cselect_b32 s20, s36, s60                                // 000000008D04: 85143C24
	v_readlane_b32 s82, v3, 23                                 // 000000008D08: D2890052 00012F03
	s_and_b32 s82, s82, 0xffffff                               // 000000008D10: 8652FF52 00FFFFFF
	s_cmp_lt_u32 s82, s66                                      // 000000008D18: BF0A4252
	s_cselect_b32 s21, s36, s60                                // 000000008D1C: 85153C24
	s_mov_b64 exec, s[20:21]                                   // 000000008D20: BEFE0114
	global_atomic_add_f32 v6, v159, s[8:9] offset:8            // 000000008D24: DD348008 00089F06
	global_atomic_add_f32 v6, v163, s[8:9] offset:264          // 000000008D2C: DD348108 0008A306
	s_mov_b64 exec, s[36:37]                                   // 000000008D34: BEFE0124
	s_branch label_2E9E                                        // 000000008D38: BF8215CC

0000000000008d3c <label_18D2>:
	s_waitcnt vmcnt(16) lgkmcnt(0)                             // 000000008D3C: BF8C4070
	v_mfma_i32_16x16x32_i8 v[68:71], a[96:97], a[0:1], v[68:71]// 000000008D40: D3D70044 1D120160
	buffer_load_dwordx4 a[128:131], v66, s[24:27], 0 offen     // 000000008D48: E05C1000 80868042
	v_mfma_i32_16x16x32_i8 v[68:71], a[98:99], a[2:3], v[68:71]// 000000008D50: D3D70044 1D120562
	v_mfma_i32_16x16x32_i8 v[68:71], a[100:101], a[4:5], v[68:71]// 000000008D58: D3D70044 1D120964
	v_mfma_i32_16x16x32_i8 v[68:71], a[102:103], a[6:7], v[68:71]// 000000008D60: D3D70044 1D120D66
	v_mfma_i32_16x16x32_i8 v[92:95], a[104:105], a[0:1], v[92:95]// 000000008D68: D3D7005C 1D720168
	buffer_load_dwordx4 a[132:135], v66, s[24:27], 0 offen offset:1024// 000000008D70: E05C1400 80868442
	v_mfma_i32_16x16x32_i8 v[92:95], a[106:107], a[2:3], v[92:95]// 000000008D78: D3D7005C 1D72056A
	v_mfma_i32_16x16x32_i8 v[92:95], a[108:109], a[4:5], v[92:95]// 000000008D80: D3D7005C 1D72096C
	v_mfma_i32_16x16x32_i8 v[92:95], a[110:111], a[6:7], v[92:95]// 000000008D88: D3D7005C 1D720D6E
	v_mfma_i32_16x16x32_i8 v[72:75], a[96:97], a[8:9], v[72:75]// 000000008D90: D3D70048 1D221160
	buffer_load_dwordx4 a[136:139], v67, s[24:27], 0 offen     // 000000008D98: E05C1000 80868843
	v_mfma_i32_16x16x32_i8 v[72:75], a[98:99], a[10:11], v[72:75]// 000000008DA0: D3D70048 1D221562
	v_mfma_i32_16x16x32_i8 v[72:75], a[100:101], a[12:13], v[72:75]// 000000008DA8: D3D70048 1D221964
	v_mfma_i32_16x16x32_i8 v[72:75], a[102:103], a[14:15], v[72:75]// 000000008DB0: D3D70048 1D221D66
	v_mfma_i32_16x16x32_i8 v[96:99], a[104:105], a[8:9], v[96:99]// 000000008DB8: D3D70060 1D821168
	buffer_load_dwordx4 a[140:143], v67, s[24:27], 0 offen offset:1024// 000000008DC0: E05C1400 80868C43
	buffer_load_dword v54, s[20:23], 0 offen lds               // 000000008DC8: E0511000 80050036
	s_add_u32 m0, 0x100, s50                                   // 000000008DD0: 807C32FF 00000100
	v_mfma_i32_16x16x32_i8 v[96:99], a[106:107], a[10:11], v[96:99]// 000000008DD8: D3D70060 1D82156A
	v_mfma_i32_16x16x32_i8 v[96:99], a[108:109], a[12:13], v[96:99]// 000000008DE0: D3D70060 1D82196C
	buffer_load_dword v55, s[20:23], 0 offen lds               // 000000008DE8: E0511000 80050037
	s_add_u32 m0, 0x200, s50                                   // 000000008DF0: 807C32FF 00000200
	v_mfma_i32_16x16x32_i8 v[96:99], a[110:111], a[14:15], v[96:99]// 000000008DF8: D3D70060 1D821D6E
	v_mfma_i32_16x16x32_i8 v[76:79], a[96:97], a[16:17], v[76:79]// 000000008E00: D3D7004C 1D322160
	buffer_load_dword v56, s[20:23], 0 offen lds               // 000000008E08: E0511000 80050038
	s_add_u32 m0, 0x300, s50                                   // 000000008E10: 807C32FF 00000300
	v_mfma_i32_16x16x32_i8 v[76:79], a[98:99], a[18:19], v[76:79]// 000000008E18: D3D7004C 1D322562
	v_mfma_i32_16x16x32_i8 v[76:79], a[100:101], a[20:21], v[76:79]// 000000008E20: D3D7004C 1D322964
	buffer_load_dword v57, s[20:23], 0 offen lds               // 000000008E28: E0511000 80050039
	s_add_u32 m0, 0x400, s50                                   // 000000008E30: 807C32FF 00000400
	v_mfma_i32_16x16x32_i8 v[76:79], a[102:103], a[22:23], v[76:79]// 000000008E38: D3D7004C 1D322D66
	v_mfma_i32_16x16x32_i8 v[100:103], a[104:105], a[16:17], v[100:103]// 000000008E40: D3D70064 1D922168
	buffer_load_dword v58, s[20:23], 0 offen lds               // 000000008E48: E0511000 8005003A
	s_add_u32 m0, 0x500, s50                                   // 000000008E50: 807C32FF 00000500
	v_mfma_i32_16x16x32_i8 v[100:103], a[106:107], a[18:19], v[100:103]// 000000008E58: D3D70064 1D92256A
	v_mfma_i32_16x16x32_i8 v[100:103], a[108:109], a[20:21], v[100:103]// 000000008E60: D3D70064 1D92296C
	buffer_load_dword v59, s[20:23], 0 offen lds               // 000000008E68: E0511000 8005003B
	s_add_u32 m0, 0x600, s50                                   // 000000008E70: 807C32FF 00000600
	v_mfma_i32_16x16x32_i8 v[100:103], a[110:111], a[22:23], v[100:103]// 000000008E78: D3D70064 1D922D6E
	v_mfma_i32_16x16x32_i8 v[80:83], a[96:97], a[24:25], v[80:83]// 000000008E80: D3D70050 1D423160
	buffer_load_dword v60, s[20:23], 0 offen lds               // 000000008E88: E0511000 8005003C
	s_add_u32 m0, 0x700, s50                                   // 000000008E90: 807C32FF 00000700
	v_mfma_i32_16x16x32_i8 v[80:83], a[98:99], a[26:27], v[80:83]// 000000008E98: D3D70050 1D423562
	v_mfma_i32_16x16x32_i8 v[80:83], a[100:101], a[28:29], v[80:83]// 000000008EA0: D3D70050 1D423964
	buffer_load_dword v61, s[20:23], 0 offen lds               // 000000008EA8: E0511000 8005003D
	s_add_u32 m0, 0x800, s50                                   // 000000008EB0: 807C32FF 00000800
	v_mfma_i32_16x16x32_i8 v[80:83], a[102:103], a[30:31], v[80:83]// 000000008EB8: D3D70050 1D423D66
	v_mfma_i32_16x16x32_i8 v[104:107], a[104:105], a[24:25], v[104:107]// 000000008EC0: D3D70068 1DA23168
	buffer_load_dword v62, s[20:23], 0 offen lds               // 000000008EC8: E0511000 8005003E
	s_add_u32 m0, 0x900, s50                                   // 000000008ED0: 807C32FF 00000900
	v_mfma_i32_16x16x32_i8 v[104:107], a[106:107], a[26:27], v[104:107]// 000000008ED8: D3D70068 1DA2356A
	v_mfma_i32_16x16x32_i8 v[104:107], a[108:109], a[28:29], v[104:107]// 000000008EE0: D3D70068 1DA2396C
	buffer_load_dword v63, s[20:23], 0 offen lds               // 000000008EE8: E0511000 8005003F
	s_add_u32 m0, 0xa00, s50                                   // 000000008EF0: 807C32FF 00000A00
	v_mfma_i32_16x16x32_i8 v[104:107], a[110:111], a[30:31], v[104:107]// 000000008EF8: D3D70068 1DA23D6E
	v_mfma_i32_16x16x32_i8 v[84:87], a[96:97], a[32:33], v[84:87]// 000000008F00: D3D70054 1D524160
	buffer_load_dword v64, s[20:23], 0 offen lds               // 000000008F08: E0511000 80050040
	s_add_u32 m0, 0xb00, s50                                   // 000000008F10: 807C32FF 00000B00
	v_mfma_i32_16x16x32_i8 v[84:87], a[98:99], a[34:35], v[84:87]// 000000008F18: D3D70054 1D524562
	v_mfma_i32_16x16x32_i8 v[84:87], a[100:101], a[36:37], v[84:87]// 000000008F20: D3D70054 1D524964
	buffer_load_dword v65, s[20:23], 0 offen lds               // 000000008F28: E0511000 80050041
	s_add_u32 m0, 0, s48                                       // 000000008F30: 807C3080
	v_mfma_i32_16x16x32_i8 v[84:87], a[102:103], a[38:39], v[84:87]// 000000008F34: D3D70054 1D524D66
	v_mfma_i32_16x16x32_i8 v[108:111], a[104:105], a[32:33], v[108:111]// 000000008F3C: D3D7006C 1DB24168
	v_mfma_i32_16x16x32_i8 v[108:111], a[106:107], a[34:35], v[108:111]// 000000008F44: D3D7006C 1DB2456A
	v_mfma_i32_16x16x32_i8 v[108:111], a[108:109], a[36:37], v[108:111]// 000000008F4C: D3D7006C 1DB2496C
	v_mfma_i32_16x16x32_i8 v[108:111], a[110:111], a[38:39], v[108:111]// 000000008F54: D3D7006C 1DB24D6E
	v_mfma_i32_16x16x32_i8 v[88:91], a[96:97], a[40:41], v[88:91]// 000000008F5C: D3D70058 1D625160
	v_mfma_i32_16x16x32_i8 v[88:91], a[98:99], a[42:43], v[88:91]// 000000008F64: D3D70058 1D625562
	v_mfma_i32_16x16x32_i8 v[88:91], a[100:101], a[44:45], v[88:91]// 000000008F6C: D3D70058 1D625964
	v_mfma_i32_16x16x32_i8 v[88:91], a[102:103], a[46:47], v[88:91]// 000000008F74: D3D70058 1D625D66
	v_mfma_i32_16x16x32_i8 v[112:115], a[104:105], a[40:41], v[112:115]// 000000008F7C: D3D70070 1DC25168
	v_mfma_i32_16x16x32_i8 v[112:115], a[106:107], a[42:43], v[112:115]// 000000008F84: D3D70070 1DC2556A
	v_mfma_i32_16x16x32_i8 v[112:115], a[108:109], a[44:45], v[112:115]// 000000008F8C: D3D70070 1DC2596C
	v_mfma_i32_16x16x32_i8 v[112:115], a[110:111], a[46:47], v[112:115]// 000000008F94: D3D70070 1DC25D6E
	s_waitcnt vmcnt(16)                                        // 000000008F9C: BF8C4F70
	s_barrier                                                  // 000000008FA0: BF8A0000
	v_mfma_i32_16x16x32_i8 v[116:119], a[112:113], a[0:1], v[116:119]// 000000008FA4: D3D70074 1DD20170
	buffer_load_dwordx4 a[96:99], v66, s[84:87], 0 offen       // 000000008FAC: E05C1000 80956042
	v_mfma_i32_16x16x32_i8 v[116:119], a[114:115], a[2:3], v[116:119]// 000000008FB4: D3D70074 1DD20572
	v_mfma_i32_16x16x32_i8 v[116:119], a[116:117], a[4:5], v[116:119]// 000000008FBC: D3D70074 1DD20974
	ds_read_b128 a[48:51], v2 offset:12416                     // 000000008FC4: DBFE3080 30000002
	ds_read_b128 a[52:55], v2 offset:12480                     // 000000008FCC: DBFE30C0 34000002
	v_mfma_i32_16x16x32_i8 v[116:119], a[118:119], a[6:7], v[116:119]// 000000008FD4: D3D70074 1DD20D76
	v_mfma_i32_16x16x32_i8 v[140:143], a[120:121], a[0:1], v[140:143]// 000000008FDC: D3D7008C 1E320178
	buffer_load_dwordx4 a[100:103], v66, s[84:87], 0 offen offset:1024// 000000008FE4: E05C1400 80956442
	v_mfma_i32_16x16x32_i8 v[140:143], a[122:123], a[2:3], v[140:143]// 000000008FEC: D3D7008C 1E32057A
	v_mfma_i32_16x16x32_i8 v[140:143], a[124:125], a[4:5], v[140:143]// 000000008FF4: D3D7008C 1E32097C
	ds_read_b128 a[56:59], v2 offset:12928                     // 000000008FFC: DBFE3280 38000002
	ds_read_b128 a[60:63], v2 offset:12992                     // 000000009004: DBFE32C0 3C000002
	v_mfma_i32_16x16x32_i8 v[140:143], a[126:127], a[6:7], v[140:143]// 00000000900C: D3D7008C 1E320D7E
	v_mfma_i32_16x16x32_i8 v[120:123], a[112:113], a[8:9], v[120:123]// 000000009014: D3D70078 1DE21170
	buffer_load_dwordx4 a[104:107], v67, s[84:87], 0 offen     // 00000000901C: E05C1000 80956843
	v_mfma_i32_16x16x32_i8 v[120:123], a[114:115], a[10:11], v[120:123]// 000000009024: D3D70078 1DE21572
	v_mfma_i32_16x16x32_i8 v[120:123], a[116:117], a[12:13], v[120:123]// 00000000902C: D3D70078 1DE21974
	ds_read_b128 a[64:67], v2 offset:13440                     // 000000009034: DBFE3480 40000002
	ds_read_b128 a[68:71], v2 offset:13504                     // 00000000903C: DBFE34C0 44000002
	v_mfma_i32_16x16x32_i8 v[120:123], a[118:119], a[14:15], v[120:123]// 000000009044: D3D70078 1DE21D76
	v_mfma_i32_16x16x32_i8 v[144:147], a[120:121], a[8:9], v[144:147]// 00000000904C: D3D70090 1E421178
	buffer_load_dwordx4 a[108:111], v67, s[84:87], 0 offen offset:1024// 000000009054: E05C1400 80956C43
	v_mfma_i32_16x16x32_i8 v[144:147], a[122:123], a[10:11], v[144:147]// 00000000905C: D3D70090 1E42157A
	v_mfma_i32_16x16x32_i8 v[144:147], a[124:125], a[12:13], v[144:147]// 000000009064: D3D70090 1E42197C
	ds_read_b128 a[72:75], v2 offset:13952                     // 00000000906C: DBFE3680 48000002
	ds_read_b128 a[76:79], v2 offset:14016                     // 000000009074: DBFE36C0 4C000002
	v_mfma_i32_16x16x32_i8 v[144:147], a[126:127], a[14:15], v[144:147]// 00000000907C: D3D70090 1E421D7E
	v_mfma_i32_16x16x32_i8 v[124:127], a[112:113], a[16:17], v[124:127]// 000000009084: D3D7007C 1DF22170
	v_mfma_i32_16x16x32_i8 v[124:127], a[114:115], a[18:19], v[124:127]// 00000000908C: D3D7007C 1DF22572
	v_mfma_i32_16x16x32_i8 v[124:127], a[116:117], a[20:21], v[124:127]// 000000009094: D3D7007C 1DF22974
	ds_read_b128 a[80:83], v2 offset:14464                     // 00000000909C: DBFE3880 50000002
	ds_read_b128 a[84:87], v2 offset:14528                     // 0000000090A4: DBFE38C0 54000002
	v_mfma_i32_16x16x32_i8 v[124:127], a[118:119], a[22:23], v[124:127]// 0000000090AC: D3D7007C 1DF22D76
	v_mfma_i32_16x16x32_i8 v[148:151], a[120:121], a[16:17], v[148:151]// 0000000090B4: D3D70094 1E522178
	v_mfma_i32_16x16x32_i8 v[148:151], a[122:123], a[18:19], v[148:151]// 0000000090BC: D3D70094 1E52257A
	v_mfma_i32_16x16x32_i8 v[148:151], a[124:125], a[20:21], v[148:151]// 0000000090C4: D3D70094 1E52297C
	ds_read_b128 a[88:91], v2 offset:14976                     // 0000000090CC: DBFE3A80 58000002
	ds_read_b128 a[92:95], v2 offset:15040                     // 0000000090D4: DBFE3AC0 5C000002
	v_mfma_i32_16x16x32_i8 v[148:151], a[126:127], a[22:23], v[148:151]// 0000000090DC: D3D70094 1E522D7E
	v_mfma_i32_16x16x32_i8 v[128:131], a[112:113], a[24:25], v[128:131]// 0000000090E4: D3D70080 1E023170
	v_mfma_i32_16x16x32_i8 v[128:131], a[114:115], a[26:27], v[128:131]// 0000000090EC: D3D70080 1E023572
	v_mfma_i32_16x16x32_i8 v[128:131], a[116:117], a[28:29], v[128:131]// 0000000090F4: D3D70080 1E023974
	v_mfma_i32_16x16x32_i8 v[128:131], a[118:119], a[30:31], v[128:131]// 0000000090FC: D3D70080 1E023D76
	v_mfma_i32_16x16x32_i8 v[152:155], a[120:121], a[24:25], v[152:155]// 000000009104: D3D70098 1E623178
	v_mfma_i32_16x16x32_i8 v[152:155], a[122:123], a[26:27], v[152:155]// 00000000910C: D3D70098 1E62357A
	v_mfma_i32_16x16x32_i8 v[152:155], a[124:125], a[28:29], v[152:155]// 000000009114: D3D70098 1E62397C
	v_mfma_i32_16x16x32_i8 v[152:155], a[126:127], a[30:31], v[152:155]// 00000000911C: D3D70098 1E623D7E
	v_mfma_i32_16x16x32_i8 v[132:135], a[112:113], a[32:33], v[132:135]// 000000009124: D3D70084 1E124170
	v_mfma_i32_16x16x32_i8 v[132:135], a[114:115], a[34:35], v[132:135]// 00000000912C: D3D70084 1E124572
	v_mfma_i32_16x16x32_i8 v[132:135], a[116:117], a[36:37], v[132:135]// 000000009134: D3D70084 1E124974
	v_mfma_i32_16x16x32_i8 v[132:135], a[118:119], a[38:39], v[132:135]// 00000000913C: D3D70084 1E124D76
	v_mfma_i32_16x16x32_i8 v[156:159], a[120:121], a[32:33], v[156:159]// 000000009144: D3D7009C 1E724178
	v_mfma_i32_16x16x32_i8 v[156:159], a[122:123], a[34:35], v[156:159]// 00000000914C: D3D7009C 1E72457A
	v_mfma_i32_16x16x32_i8 v[156:159], a[124:125], a[36:37], v[156:159]// 000000009154: D3D7009C 1E72497C
	v_mfma_i32_16x16x32_i8 v[156:159], a[126:127], a[38:39], v[156:159]// 00000000915C: D3D7009C 1E724D7E
	v_mfma_i32_16x16x32_i8 v[136:139], a[112:113], a[40:41], v[136:139]// 000000009164: D3D70088 1E225170
	s_add_u32 s60, 0x180, s80                                  // 00000000916C: 803C50FF 00000180
	s_cmp_lt_u32 s60, s81                                      // 000000009174: BF0A513C
	s_cselect_b32 s57, s57, 0                                  // 000000009178: 85398039
	v_mfma_i32_16x16x32_i8 v[136:139], a[114:115], a[42:43], v[136:139]// 00000000917C: D3D70088 1E225572
	s_add_u32 s60, 0x100, s80                                  // 000000009184: 803C50FF 00000100
	s_cmp_lt_u32 s60, s81                                      // 00000000918C: BF0A513C
	s_cselect_b32 s58, s58, 0                                  // 000000009190: 853A803A
	v_mfma_i32_16x16x32_i8 v[136:139], a[116:117], a[44:45], v[136:139]// 000000009194: D3D70088 1E225974
	s_add_u32 s60, 0x100, s80                                  // 00000000919C: 803C50FF 00000100
	s_cmp_lt_u32 s60, s81                                      // 0000000091A4: BF0A513C
	s_cselect_b32 s83, s83, 0                                  // 0000000091A8: 85538053
	v_mfma_i32_16x16x32_i8 v[136:139], a[118:119], a[46:47], v[136:139]// 0000000091AC: D3D70088 1E225D76
	s_add_u32 s24, s58, s24                                    // 0000000091B4: 8018183A
	s_addc_u32 s25, 0, s25                                     // 0000000091B8: 82191980
	v_mfma_i32_16x16x32_i8 v[160:163], a[120:121], a[40:41], v[160:163]// 0000000091BC: D3D700A0 1E825178
	s_add_u32 s20, s57, s20                                    // 0000000091C4: 80141439
	s_addc_u32 s21, 0, s21                                     // 0000000091C8: 82151580
	v_mfma_i32_16x16x32_i8 v[160:163], a[122:123], a[42:43], v[160:163]// 0000000091CC: D3D700A0 1E82557A
	s_add_u32 s84, s83, s84                                    // 0000000091D4: 80545453
	s_addc_u32 s85, 0, s85                                     // 0000000091D8: 82555580
	v_mfma_i32_16x16x32_i8 v[160:163], a[124:125], a[44:45], v[160:163]// 0000000091DC: D3D700A0 1E82597C
	v_mfma_i32_16x16x32_i8 v[160:163], a[126:127], a[46:47], v[160:163]// 0000000091E4: D3D700A0 1E825D7E
	s_addk_i32 s80, 0x80                                       // 0000000091EC: B7500080
	s_cmp_lt_i32 s80, s81                                      // 0000000091F0: BF045150
	s_cbranch_scc0 label_1FED                                  // 0000000091F4: BF8405EC
	s_waitcnt vmcnt(16) lgkmcnt(0)                             // 0000000091F8: BF8C4070
	v_mfma_i32_16x16x32_i8 v[68:71], a[128:129], a[48:49], v[68:71]// 0000000091FC: D3D70044 1D126180
	buffer_load_dwordx4 a[112:115], v66, s[24:27], 0 offen     // 000000009204: E05C1000 80867042
	v_mfma_i32_16x16x32_i8 v[68:71], a[130:131], a[50:51], v[68:71]// 00000000920C: D3D70044 1D126582
	v_mfma_i32_16x16x32_i8 v[68:71], a[132:133], a[52:53], v[68:71]// 000000009214: D3D70044 1D126984
	v_mfma_i32_16x16x32_i8 v[68:71], a[134:135], a[54:55], v[68:71]// 00000000921C: D3D70044 1D126D86
	v_mfma_i32_16x16x32_i8 v[92:95], a[136:137], a[48:49], v[92:95]// 000000009224: D3D7005C 1D726188
	buffer_load_dwordx4 a[116:119], v66, s[24:27], 0 offen offset:1024// 00000000922C: E05C1400 80867442
	v_mfma_i32_16x16x32_i8 v[92:95], a[138:139], a[50:51], v[92:95]// 000000009234: D3D7005C 1D72658A
	v_mfma_i32_16x16x32_i8 v[92:95], a[140:141], a[52:53], v[92:95]// 00000000923C: D3D7005C 1D72698C
	v_mfma_i32_16x16x32_i8 v[92:95], a[142:143], a[54:55], v[92:95]// 000000009244: D3D7005C 1D726D8E
	v_mfma_i32_16x16x32_i8 v[72:75], a[128:129], a[56:57], v[72:75]// 00000000924C: D3D70048 1D227180
	buffer_load_dwordx4 a[120:123], v67, s[24:27], 0 offen     // 000000009254: E05C1000 80867843
	v_mfma_i32_16x16x32_i8 v[72:75], a[130:131], a[58:59], v[72:75]// 00000000925C: D3D70048 1D227582
	v_mfma_i32_16x16x32_i8 v[72:75], a[132:133], a[60:61], v[72:75]// 000000009264: D3D70048 1D227984
	v_mfma_i32_16x16x32_i8 v[72:75], a[134:135], a[62:63], v[72:75]// 00000000926C: D3D70048 1D227D86
	v_mfma_i32_16x16x32_i8 v[96:99], a[136:137], a[56:57], v[96:99]// 000000009274: D3D70060 1D827188
	buffer_load_dwordx4 a[124:127], v67, s[24:27], 0 offen offset:1024// 00000000927C: E05C1400 80867C43
	buffer_load_dword v54, s[20:23], 0 offen lds               // 000000009284: E0511000 80050036
	s_add_u32 m0, 0x100, s48                                   // 00000000928C: 807C30FF 00000100
	v_mfma_i32_16x16x32_i8 v[96:99], a[138:139], a[58:59], v[96:99]// 000000009294: D3D70060 1D82758A
	v_mfma_i32_16x16x32_i8 v[96:99], a[140:141], a[60:61], v[96:99]// 00000000929C: D3D70060 1D82798C
	buffer_load_dword v55, s[20:23], 0 offen lds               // 0000000092A4: E0511000 80050037
	s_add_u32 m0, 0x200, s48                                   // 0000000092AC: 807C30FF 00000200
	v_mfma_i32_16x16x32_i8 v[96:99], a[142:143], a[62:63], v[96:99]// 0000000092B4: D3D70060 1D827D8E
	v_mfma_i32_16x16x32_i8 v[76:79], a[128:129], a[64:65], v[76:79]// 0000000092BC: D3D7004C 1D328180
	buffer_load_dword v56, s[20:23], 0 offen lds               // 0000000092C4: E0511000 80050038
	s_add_u32 m0, 0x300, s48                                   // 0000000092CC: 807C30FF 00000300
	v_mfma_i32_16x16x32_i8 v[76:79], a[130:131], a[66:67], v[76:79]// 0000000092D4: D3D7004C 1D328582
	v_mfma_i32_16x16x32_i8 v[76:79], a[132:133], a[68:69], v[76:79]// 0000000092DC: D3D7004C 1D328984
	buffer_load_dword v57, s[20:23], 0 offen lds               // 0000000092E4: E0511000 80050039
	s_add_u32 m0, 0x400, s48                                   // 0000000092EC: 807C30FF 00000400
	v_mfma_i32_16x16x32_i8 v[76:79], a[134:135], a[70:71], v[76:79]// 0000000092F4: D3D7004C 1D328D86
	v_mfma_i32_16x16x32_i8 v[100:103], a[136:137], a[64:65], v[100:103]// 0000000092FC: D3D70064 1D928188
	buffer_load_dword v58, s[20:23], 0 offen lds               // 000000009304: E0511000 8005003A
	s_add_u32 m0, 0x500, s48                                   // 00000000930C: 807C30FF 00000500
	v_mfma_i32_16x16x32_i8 v[100:103], a[138:139], a[66:67], v[100:103]// 000000009314: D3D70064 1D92858A
	v_mfma_i32_16x16x32_i8 v[100:103], a[140:141], a[68:69], v[100:103]// 00000000931C: D3D70064 1D92898C
	buffer_load_dword v59, s[20:23], 0 offen lds               // 000000009324: E0511000 8005003B
	s_add_u32 m0, 0x600, s48                                   // 00000000932C: 807C30FF 00000600
	v_mfma_i32_16x16x32_i8 v[100:103], a[142:143], a[70:71], v[100:103]// 000000009334: D3D70064 1D928D8E
	v_mfma_i32_16x16x32_i8 v[80:83], a[128:129], a[72:73], v[80:83]// 00000000933C: D3D70050 1D429180
	buffer_load_dword v60, s[20:23], 0 offen lds               // 000000009344: E0511000 8005003C
	s_add_u32 m0, 0x700, s48                                   // 00000000934C: 807C30FF 00000700
	v_mfma_i32_16x16x32_i8 v[80:83], a[130:131], a[74:75], v[80:83]// 000000009354: D3D70050 1D429582
	v_mfma_i32_16x16x32_i8 v[80:83], a[132:133], a[76:77], v[80:83]// 00000000935C: D3D70050 1D429984
	buffer_load_dword v61, s[20:23], 0 offen lds               // 000000009364: E0511000 8005003D
	s_add_u32 m0, 0x800, s48                                   // 00000000936C: 807C30FF 00000800
	v_mfma_i32_16x16x32_i8 v[80:83], a[134:135], a[78:79], v[80:83]// 000000009374: D3D70050 1D429D86
	v_mfma_i32_16x16x32_i8 v[104:107], a[136:137], a[72:73], v[104:107]// 00000000937C: D3D70068 1DA29188
	buffer_load_dword v62, s[20:23], 0 offen lds               // 000000009384: E0511000 8005003E
	s_add_u32 m0, 0x900, s48                                   // 00000000938C: 807C30FF 00000900
	v_mfma_i32_16x16x32_i8 v[104:107], a[138:139], a[74:75], v[104:107]// 000000009394: D3D70068 1DA2958A
	v_mfma_i32_16x16x32_i8 v[104:107], a[140:141], a[76:77], v[104:107]// 00000000939C: D3D70068 1DA2998C
	buffer_load_dword v63, s[20:23], 0 offen lds               // 0000000093A4: E0511000 8005003F
	s_add_u32 m0, 0xa00, s48                                   // 0000000093AC: 807C30FF 00000A00
	v_mfma_i32_16x16x32_i8 v[104:107], a[142:143], a[78:79], v[104:107]// 0000000093B4: D3D70068 1DA29D8E
	v_mfma_i32_16x16x32_i8 v[84:87], a[128:129], a[80:81], v[84:87]// 0000000093BC: D3D70054 1D52A180
	buffer_load_dword v64, s[20:23], 0 offen lds               // 0000000093C4: E0511000 80050040
	s_add_u32 m0, 0xb00, s48                                   // 0000000093CC: 807C30FF 00000B00
	v_mfma_i32_16x16x32_i8 v[84:87], a[130:131], a[82:83], v[84:87]// 0000000093D4: D3D70054 1D52A582
	v_mfma_i32_16x16x32_i8 v[84:87], a[132:133], a[84:85], v[84:87]// 0000000093DC: D3D70054 1D52A984
	buffer_load_dword v65, s[20:23], 0 offen lds               // 0000000093E4: E0511000 80050041
	s_add_u32 m0, 0, s49                                       // 0000000093EC: 807C3180
	v_mfma_i32_16x16x32_i8 v[84:87], a[134:135], a[86:87], v[84:87]// 0000000093F0: D3D70054 1D52AD86
	v_mfma_i32_16x16x32_i8 v[108:111], a[136:137], a[80:81], v[108:111]// 0000000093F8: D3D7006C 1DB2A188
	v_mfma_i32_16x16x32_i8 v[108:111], a[138:139], a[82:83], v[108:111]// 000000009400: D3D7006C 1DB2A58A
	v_mfma_i32_16x16x32_i8 v[108:111], a[140:141], a[84:85], v[108:111]// 000000009408: D3D7006C 1DB2A98C
	v_mfma_i32_16x16x32_i8 v[108:111], a[142:143], a[86:87], v[108:111]// 000000009410: D3D7006C 1DB2AD8E
	v_mfma_i32_16x16x32_i8 v[88:91], a[128:129], a[88:89], v[88:91]// 000000009418: D3D70058 1D62B180
	v_mfma_i32_16x16x32_i8 v[88:91], a[130:131], a[90:91], v[88:91]// 000000009420: D3D70058 1D62B582
	v_mfma_i32_16x16x32_i8 v[88:91], a[132:133], a[92:93], v[88:91]// 000000009428: D3D70058 1D62B984
	v_mfma_i32_16x16x32_i8 v[88:91], a[134:135], a[94:95], v[88:91]// 000000009430: D3D70058 1D62BD86
	v_mfma_i32_16x16x32_i8 v[112:115], a[136:137], a[88:89], v[112:115]// 000000009438: D3D70070 1DC2B188
	v_mfma_i32_16x16x32_i8 v[112:115], a[138:139], a[90:91], v[112:115]// 000000009440: D3D70070 1DC2B58A
	v_mfma_i32_16x16x32_i8 v[112:115], a[140:141], a[92:93], v[112:115]// 000000009448: D3D70070 1DC2B98C
	v_mfma_i32_16x16x32_i8 v[112:115], a[142:143], a[94:95], v[112:115]// 000000009450: D3D70070 1DC2BD8E
	s_waitcnt vmcnt(16)                                        // 000000009458: BF8C4F70
	s_barrier                                                  // 00000000945C: BF8A0000
	v_mfma_i32_16x16x32_i8 v[116:119], a[96:97], a[48:49], v[116:119]// 000000009460: D3D70074 1DD26160
	buffer_load_dwordx4 a[128:131], v66, s[84:87], 0 offen     // 000000009468: E05C1000 80958042
	v_mfma_i32_16x16x32_i8 v[116:119], a[98:99], a[50:51], v[116:119]// 000000009470: D3D70074 1DD26562
	v_mfma_i32_16x16x32_i8 v[116:119], a[100:101], a[52:53], v[116:119]// 000000009478: D3D70074 1DD26964
	ds_read_b128 a[0:3], v2 offset:24832                       // 000000009480: DBFE6100 00000002
	ds_read_b128 a[4:7], v2 offset:24896                       // 000000009488: DBFE6140 04000002
	v_mfma_i32_16x16x32_i8 v[116:119], a[102:103], a[54:55], v[116:119]// 000000009490: D3D70074 1DD26D66
	v_mfma_i32_16x16x32_i8 v[140:143], a[104:105], a[48:49], v[140:143]// 000000009498: D3D7008C 1E326168
	buffer_load_dwordx4 a[132:135], v66, s[84:87], 0 offen offset:1024// 0000000094A0: E05C1400 80958442
	v_mfma_i32_16x16x32_i8 v[140:143], a[106:107], a[50:51], v[140:143]// 0000000094A8: D3D7008C 1E32656A
	v_mfma_i32_16x16x32_i8 v[140:143], a[108:109], a[52:53], v[140:143]// 0000000094B0: D3D7008C 1E32696C
	ds_read_b128 a[8:11], v2 offset:25344                      // 0000000094B8: DBFE6300 08000002
	ds_read_b128 a[12:15], v2 offset:25408                     // 0000000094C0: DBFE6340 0C000002
	v_mfma_i32_16x16x32_i8 v[140:143], a[110:111], a[54:55], v[140:143]// 0000000094C8: D3D7008C 1E326D6E
	v_mfma_i32_16x16x32_i8 v[120:123], a[96:97], a[56:57], v[120:123]// 0000000094D0: D3D70078 1DE27160
	buffer_load_dwordx4 a[136:139], v67, s[84:87], 0 offen     // 0000000094D8: E05C1000 80958843
	v_mfma_i32_16x16x32_i8 v[120:123], a[98:99], a[58:59], v[120:123]// 0000000094E0: D3D70078 1DE27562
	v_mfma_i32_16x16x32_i8 v[120:123], a[100:101], a[60:61], v[120:123]// 0000000094E8: D3D70078 1DE27964
	ds_read_b128 a[16:19], v2 offset:25856                     // 0000000094F0: DBFE6500 10000002
	ds_read_b128 a[20:23], v2 offset:25920                     // 0000000094F8: DBFE6540 14000002
	v_mfma_i32_16x16x32_i8 v[120:123], a[102:103], a[62:63], v[120:123]// 000000009500: D3D70078 1DE27D66
	v_mfma_i32_16x16x32_i8 v[144:147], a[104:105], a[56:57], v[144:147]// 000000009508: D3D70090 1E427168
	buffer_load_dwordx4 a[140:143], v67, s[84:87], 0 offen offset:1024// 000000009510: E05C1400 80958C43
	v_mfma_i32_16x16x32_i8 v[144:147], a[106:107], a[58:59], v[144:147]// 000000009518: D3D70090 1E42756A
	v_mfma_i32_16x16x32_i8 v[144:147], a[108:109], a[60:61], v[144:147]// 000000009520: D3D70090 1E42796C
	ds_read_b128 a[24:27], v2 offset:26368                     // 000000009528: DBFE6700 18000002
	ds_read_b128 a[28:31], v2 offset:26432                     // 000000009530: DBFE6740 1C000002
	v_mfma_i32_16x16x32_i8 v[144:147], a[110:111], a[62:63], v[144:147]// 000000009538: D3D70090 1E427D6E
	v_mfma_i32_16x16x32_i8 v[124:127], a[96:97], a[64:65], v[124:127]// 000000009540: D3D7007C 1DF28160
	v_mfma_i32_16x16x32_i8 v[124:127], a[98:99], a[66:67], v[124:127]// 000000009548: D3D7007C 1DF28562
	v_mfma_i32_16x16x32_i8 v[124:127], a[100:101], a[68:69], v[124:127]// 000000009550: D3D7007C 1DF28964
	ds_read_b128 a[32:35], v2 offset:26880                     // 000000009558: DBFE6900 20000002
	ds_read_b128 a[36:39], v2 offset:26944                     // 000000009560: DBFE6940 24000002
	v_mfma_i32_16x16x32_i8 v[124:127], a[102:103], a[70:71], v[124:127]// 000000009568: D3D7007C 1DF28D66
	v_mfma_i32_16x16x32_i8 v[148:151], a[104:105], a[64:65], v[148:151]// 000000009570: D3D70094 1E528168
	v_mfma_i32_16x16x32_i8 v[148:151], a[106:107], a[66:67], v[148:151]// 000000009578: D3D70094 1E52856A
	v_mfma_i32_16x16x32_i8 v[148:151], a[108:109], a[68:69], v[148:151]// 000000009580: D3D70094 1E52896C
	ds_read_b128 a[40:43], v2 offset:27392                     // 000000009588: DBFE6B00 28000002
	ds_read_b128 a[44:47], v2 offset:27456                     // 000000009590: DBFE6B40 2C000002
	v_mfma_i32_16x16x32_i8 v[148:151], a[110:111], a[70:71], v[148:151]// 000000009598: D3D70094 1E528D6E
	v_mfma_i32_16x16x32_i8 v[128:131], a[96:97], a[72:73], v[128:131]// 0000000095A0: D3D70080 1E029160
	v_mfma_i32_16x16x32_i8 v[128:131], a[98:99], a[74:75], v[128:131]// 0000000095A8: D3D70080 1E029562
	v_mfma_i32_16x16x32_i8 v[128:131], a[100:101], a[76:77], v[128:131]// 0000000095B0: D3D70080 1E029964
	v_mfma_i32_16x16x32_i8 v[128:131], a[102:103], a[78:79], v[128:131]// 0000000095B8: D3D70080 1E029D66
	v_mfma_i32_16x16x32_i8 v[152:155], a[104:105], a[72:73], v[152:155]// 0000000095C0: D3D70098 1E629168
	v_mfma_i32_16x16x32_i8 v[152:155], a[106:107], a[74:75], v[152:155]// 0000000095C8: D3D70098 1E62956A
	v_mfma_i32_16x16x32_i8 v[152:155], a[108:109], a[76:77], v[152:155]// 0000000095D0: D3D70098 1E62996C
	v_mfma_i32_16x16x32_i8 v[152:155], a[110:111], a[78:79], v[152:155]// 0000000095D8: D3D70098 1E629D6E
	v_mfma_i32_16x16x32_i8 v[132:135], a[96:97], a[80:81], v[132:135]// 0000000095E0: D3D70084 1E12A160
	v_mfma_i32_16x16x32_i8 v[132:135], a[98:99], a[82:83], v[132:135]// 0000000095E8: D3D70084 1E12A562
	v_mfma_i32_16x16x32_i8 v[132:135], a[100:101], a[84:85], v[132:135]// 0000000095F0: D3D70084 1E12A964
	v_mfma_i32_16x16x32_i8 v[132:135], a[102:103], a[86:87], v[132:135]// 0000000095F8: D3D70084 1E12AD66
	v_mfma_i32_16x16x32_i8 v[156:159], a[104:105], a[80:81], v[156:159]// 000000009600: D3D7009C 1E72A168
	v_mfma_i32_16x16x32_i8 v[156:159], a[106:107], a[82:83], v[156:159]// 000000009608: D3D7009C 1E72A56A
	v_mfma_i32_16x16x32_i8 v[156:159], a[108:109], a[84:85], v[156:159]// 000000009610: D3D7009C 1E72A96C
	v_mfma_i32_16x16x32_i8 v[156:159], a[110:111], a[86:87], v[156:159]// 000000009618: D3D7009C 1E72AD6E
	v_mfma_i32_16x16x32_i8 v[136:139], a[96:97], a[88:89], v[136:139]// 000000009620: D3D70088 1E22B160
	s_add_u32 s60, 0x180, s80                                  // 000000009628: 803C50FF 00000180
	s_cmp_lt_u32 s60, s81                                      // 000000009630: BF0A513C
	s_cselect_b32 s57, s57, 0                                  // 000000009634: 85398039
	v_mfma_i32_16x16x32_i8 v[136:139], a[98:99], a[90:91], v[136:139]// 000000009638: D3D70088 1E22B562
	s_add_u32 s60, 0x100, s80                                  // 000000009640: 803C50FF 00000100
	s_cmp_lt_u32 s60, s81                                      // 000000009648: BF0A513C
	s_cselect_b32 s58, s58, 0                                  // 00000000964C: 853A803A
	v_mfma_i32_16x16x32_i8 v[136:139], a[100:101], a[92:93], v[136:139]// 000000009650: D3D70088 1E22B964
	s_add_u32 s60, 0x100, s80                                  // 000000009658: 803C50FF 00000100
	s_cmp_lt_u32 s60, s81                                      // 000000009660: BF0A513C
	s_cselect_b32 s83, s83, 0                                  // 000000009664: 85538053
	v_mfma_i32_16x16x32_i8 v[136:139], a[102:103], a[94:95], v[136:139]// 000000009668: D3D70088 1E22BD66
	s_add_u32 s24, s58, s24                                    // 000000009670: 8018183A
	s_addc_u32 s25, 0, s25                                     // 000000009674: 82191980
	v_mfma_i32_16x16x32_i8 v[160:163], a[104:105], a[88:89], v[160:163]// 000000009678: D3D700A0 1E82B168
	s_add_u32 s20, s57, s20                                    // 000000009680: 80141439
	s_addc_u32 s21, 0, s21                                     // 000000009684: 82151580
	v_mfma_i32_16x16x32_i8 v[160:163], a[106:107], a[90:91], v[160:163]// 000000009688: D3D700A0 1E82B56A
	s_add_u32 s84, s83, s84                                    // 000000009690: 80545453
	s_addc_u32 s85, 0, s85                                     // 000000009694: 82555580
	v_mfma_i32_16x16x32_i8 v[160:163], a[108:109], a[92:93], v[160:163]// 000000009698: D3D700A0 1E82B96C
	v_mfma_i32_16x16x32_i8 v[160:163], a[110:111], a[94:95], v[160:163]// 0000000096A0: D3D700A0 1E82BD6E
	s_addk_i32 s80, 0x80                                       // 0000000096A8: B7500080
	s_cmp_lt_i32 s80, s81                                      // 0000000096AC: BF045150
	s_cbranch_scc0 label_1FED                                  // 0000000096B0: BF8404BD
	s_waitcnt vmcnt(16) lgkmcnt(0)                             // 0000000096B4: BF8C4070
	v_mfma_i32_16x16x32_i8 v[68:71], a[112:113], a[0:1], v[68:71]// 0000000096B8: D3D70044 1D120170
	buffer_load_dwordx4 a[96:99], v66, s[24:27], 0 offen       // 0000000096C0: E05C1000 80866042
	v_mfma_i32_16x16x32_i8 v[68:71], a[114:115], a[2:3], v[68:71]// 0000000096C8: D3D70044 1D120572
	v_mfma_i32_16x16x32_i8 v[68:71], a[116:117], a[4:5], v[68:71]// 0000000096D0: D3D70044 1D120974
	v_mfma_i32_16x16x32_i8 v[68:71], a[118:119], a[6:7], v[68:71]// 0000000096D8: D3D70044 1D120D76
	v_mfma_i32_16x16x32_i8 v[92:95], a[120:121], a[0:1], v[92:95]// 0000000096E0: D3D7005C 1D720178
	buffer_load_dwordx4 a[100:103], v66, s[24:27], 0 offen offset:1024// 0000000096E8: E05C1400 80866442
	v_mfma_i32_16x16x32_i8 v[92:95], a[122:123], a[2:3], v[92:95]// 0000000096F0: D3D7005C 1D72057A
	v_mfma_i32_16x16x32_i8 v[92:95], a[124:125], a[4:5], v[92:95]// 0000000096F8: D3D7005C 1D72097C
	v_mfma_i32_16x16x32_i8 v[92:95], a[126:127], a[6:7], v[92:95]// 000000009700: D3D7005C 1D720D7E
	v_mfma_i32_16x16x32_i8 v[72:75], a[112:113], a[8:9], v[72:75]// 000000009708: D3D70048 1D221170
	buffer_load_dwordx4 a[104:107], v67, s[24:27], 0 offen     // 000000009710: E05C1000 80866843
	v_mfma_i32_16x16x32_i8 v[72:75], a[114:115], a[10:11], v[72:75]// 000000009718: D3D70048 1D221572
	v_mfma_i32_16x16x32_i8 v[72:75], a[116:117], a[12:13], v[72:75]// 000000009720: D3D70048 1D221974
	v_mfma_i32_16x16x32_i8 v[72:75], a[118:119], a[14:15], v[72:75]// 000000009728: D3D70048 1D221D76
	v_mfma_i32_16x16x32_i8 v[96:99], a[120:121], a[8:9], v[96:99]// 000000009730: D3D70060 1D821178
	buffer_load_dwordx4 a[108:111], v67, s[24:27], 0 offen offset:1024// 000000009738: E05C1400 80866C43
	buffer_load_dword v54, s[20:23], 0 offen lds               // 000000009740: E0511000 80050036
	s_add_u32 m0, 0x100, s49                                   // 000000009748: 807C31FF 00000100
	v_mfma_i32_16x16x32_i8 v[96:99], a[122:123], a[10:11], v[96:99]// 000000009750: D3D70060 1D82157A
	v_mfma_i32_16x16x32_i8 v[96:99], a[124:125], a[12:13], v[96:99]// 000000009758: D3D70060 1D82197C
	buffer_load_dword v55, s[20:23], 0 offen lds               // 000000009760: E0511000 80050037
	s_add_u32 m0, 0x200, s49                                   // 000000009768: 807C31FF 00000200
	v_mfma_i32_16x16x32_i8 v[96:99], a[126:127], a[14:15], v[96:99]// 000000009770: D3D70060 1D821D7E
	v_mfma_i32_16x16x32_i8 v[76:79], a[112:113], a[16:17], v[76:79]// 000000009778: D3D7004C 1D322170
	buffer_load_dword v56, s[20:23], 0 offen lds               // 000000009780: E0511000 80050038
	s_add_u32 m0, 0x300, s49                                   // 000000009788: 807C31FF 00000300
	v_mfma_i32_16x16x32_i8 v[76:79], a[114:115], a[18:19], v[76:79]// 000000009790: D3D7004C 1D322572
	v_mfma_i32_16x16x32_i8 v[76:79], a[116:117], a[20:21], v[76:79]// 000000009798: D3D7004C 1D322974
	buffer_load_dword v57, s[20:23], 0 offen lds               // 0000000097A0: E0511000 80050039
	s_add_u32 m0, 0x400, s49                                   // 0000000097A8: 807C31FF 00000400
	v_mfma_i32_16x16x32_i8 v[76:79], a[118:119], a[22:23], v[76:79]// 0000000097B0: D3D7004C 1D322D76
	v_mfma_i32_16x16x32_i8 v[100:103], a[120:121], a[16:17], v[100:103]// 0000000097B8: D3D70064 1D922178
	buffer_load_dword v58, s[20:23], 0 offen lds               // 0000000097C0: E0511000 8005003A
	s_add_u32 m0, 0x500, s49                                   // 0000000097C8: 807C31FF 00000500
	v_mfma_i32_16x16x32_i8 v[100:103], a[122:123], a[18:19], v[100:103]// 0000000097D0: D3D70064 1D92257A
	v_mfma_i32_16x16x32_i8 v[100:103], a[124:125], a[20:21], v[100:103]// 0000000097D8: D3D70064 1D92297C
	buffer_load_dword v59, s[20:23], 0 offen lds               // 0000000097E0: E0511000 8005003B
	s_add_u32 m0, 0x600, s49                                   // 0000000097E8: 807C31FF 00000600
	v_mfma_i32_16x16x32_i8 v[100:103], a[126:127], a[22:23], v[100:103]// 0000000097F0: D3D70064 1D922D7E
	v_mfma_i32_16x16x32_i8 v[80:83], a[112:113], a[24:25], v[80:83]// 0000000097F8: D3D70050 1D423170
	buffer_load_dword v60, s[20:23], 0 offen lds               // 000000009800: E0511000 8005003C
	s_add_u32 m0, 0x700, s49                                   // 000000009808: 807C31FF 00000700
	v_mfma_i32_16x16x32_i8 v[80:83], a[114:115], a[26:27], v[80:83]// 000000009810: D3D70050 1D423572
	v_mfma_i32_16x16x32_i8 v[80:83], a[116:117], a[28:29], v[80:83]// 000000009818: D3D70050 1D423974
	buffer_load_dword v61, s[20:23], 0 offen lds               // 000000009820: E0511000 8005003D
	s_add_u32 m0, 0x800, s49                                   // 000000009828: 807C31FF 00000800
	v_mfma_i32_16x16x32_i8 v[80:83], a[118:119], a[30:31], v[80:83]// 000000009830: D3D70050 1D423D76
	v_mfma_i32_16x16x32_i8 v[104:107], a[120:121], a[24:25], v[104:107]// 000000009838: D3D70068 1DA23178
	buffer_load_dword v62, s[20:23], 0 offen lds               // 000000009840: E0511000 8005003E
	s_add_u32 m0, 0x900, s49                                   // 000000009848: 807C31FF 00000900
	v_mfma_i32_16x16x32_i8 v[104:107], a[122:123], a[26:27], v[104:107]// 000000009850: D3D70068 1DA2357A
	v_mfma_i32_16x16x32_i8 v[104:107], a[124:125], a[28:29], v[104:107]// 000000009858: D3D70068 1DA2397C
	buffer_load_dword v63, s[20:23], 0 offen lds               // 000000009860: E0511000 8005003F
	s_add_u32 m0, 0xa00, s49                                   // 000000009868: 807C31FF 00000A00
	v_mfma_i32_16x16x32_i8 v[104:107], a[126:127], a[30:31], v[104:107]// 000000009870: D3D70068 1DA23D7E
	v_mfma_i32_16x16x32_i8 v[84:87], a[112:113], a[32:33], v[84:87]// 000000009878: D3D70054 1D524170
	buffer_load_dword v64, s[20:23], 0 offen lds               // 000000009880: E0511000 80050040
	s_add_u32 m0, 0xb00, s49                                   // 000000009888: 807C31FF 00000B00
	v_mfma_i32_16x16x32_i8 v[84:87], a[114:115], a[34:35], v[84:87]// 000000009890: D3D70054 1D524572
	v_mfma_i32_16x16x32_i8 v[84:87], a[116:117], a[36:37], v[84:87]// 000000009898: D3D70054 1D524974
	buffer_load_dword v65, s[20:23], 0 offen lds               // 0000000098A0: E0511000 80050041
	s_add_u32 m0, 0, s50                                       // 0000000098A8: 807C3280
	v_mfma_i32_16x16x32_i8 v[84:87], a[118:119], a[38:39], v[84:87]// 0000000098AC: D3D70054 1D524D76
	v_mfma_i32_16x16x32_i8 v[108:111], a[120:121], a[32:33], v[108:111]// 0000000098B4: D3D7006C 1DB24178
	v_mfma_i32_16x16x32_i8 v[108:111], a[122:123], a[34:35], v[108:111]// 0000000098BC: D3D7006C 1DB2457A
	v_mfma_i32_16x16x32_i8 v[108:111], a[124:125], a[36:37], v[108:111]// 0000000098C4: D3D7006C 1DB2497C
	v_mfma_i32_16x16x32_i8 v[108:111], a[126:127], a[38:39], v[108:111]// 0000000098CC: D3D7006C 1DB24D7E
	v_mfma_i32_16x16x32_i8 v[88:91], a[112:113], a[40:41], v[88:91]// 0000000098D4: D3D70058 1D625170
	v_mfma_i32_16x16x32_i8 v[88:91], a[114:115], a[42:43], v[88:91]// 0000000098DC: D3D70058 1D625572
	v_mfma_i32_16x16x32_i8 v[88:91], a[116:117], a[44:45], v[88:91]// 0000000098E4: D3D70058 1D625974
	v_mfma_i32_16x16x32_i8 v[88:91], a[118:119], a[46:47], v[88:91]// 0000000098EC: D3D70058 1D625D76
	v_mfma_i32_16x16x32_i8 v[112:115], a[120:121], a[40:41], v[112:115]// 0000000098F4: D3D70070 1DC25178
	v_mfma_i32_16x16x32_i8 v[112:115], a[122:123], a[42:43], v[112:115]// 0000000098FC: D3D70070 1DC2557A
	v_mfma_i32_16x16x32_i8 v[112:115], a[124:125], a[44:45], v[112:115]// 000000009904: D3D70070 1DC2597C
	v_mfma_i32_16x16x32_i8 v[112:115], a[126:127], a[46:47], v[112:115]// 00000000990C: D3D70070 1DC25D7E
	s_waitcnt vmcnt(16)                                        // 000000009914: BF8C4F70
	s_barrier                                                  // 000000009918: BF8A0000
	v_mfma_i32_16x16x32_i8 v[116:119], a[128:129], a[0:1], v[116:119]// 00000000991C: D3D70074 1DD20180
	buffer_load_dwordx4 a[112:115], v66, s[84:87], 0 offen     // 000000009924: E05C1000 80957042
	v_mfma_i32_16x16x32_i8 v[116:119], a[130:131], a[2:3], v[116:119]// 00000000992C: D3D70074 1DD20582
	v_mfma_i32_16x16x32_i8 v[116:119], a[132:133], a[4:5], v[116:119]// 000000009934: D3D70074 1DD20984
	ds_read_b128 a[48:51], v2                                  // 00000000993C: DBFE0000 30000002
	ds_read_b128 a[52:55], v2 offset:64                        // 000000009944: DBFE0040 34000002
	v_mfma_i32_16x16x32_i8 v[116:119], a[134:135], a[6:7], v[116:119]// 00000000994C: D3D70074 1DD20D86
	v_mfma_i32_16x16x32_i8 v[140:143], a[136:137], a[0:1], v[140:143]// 000000009954: D3D7008C 1E320188
	buffer_load_dwordx4 a[116:119], v66, s[84:87], 0 offen offset:1024// 00000000995C: E05C1400 80957442
	v_mfma_i32_16x16x32_i8 v[140:143], a[138:139], a[2:3], v[140:143]// 000000009964: D3D7008C 1E32058A
	v_mfma_i32_16x16x32_i8 v[140:143], a[140:141], a[4:5], v[140:143]// 00000000996C: D3D7008C 1E32098C
	ds_read_b128 a[56:59], v2 offset:512                       // 000000009974: DBFE0200 38000002
	ds_read_b128 a[60:63], v2 offset:576                       // 00000000997C: DBFE0240 3C000002
	v_mfma_i32_16x16x32_i8 v[140:143], a[142:143], a[6:7], v[140:143]// 000000009984: D3D7008C 1E320D8E
	v_mfma_i32_16x16x32_i8 v[120:123], a[128:129], a[8:9], v[120:123]// 00000000998C: D3D70078 1DE21180
	buffer_load_dwordx4 a[120:123], v67, s[84:87], 0 offen     // 000000009994: E05C1000 80957843
	v_mfma_i32_16x16x32_i8 v[120:123], a[130:131], a[10:11], v[120:123]// 00000000999C: D3D70078 1DE21582
	v_mfma_i32_16x16x32_i8 v[120:123], a[132:133], a[12:13], v[120:123]// 0000000099A4: D3D70078 1DE21984
	ds_read_b128 a[64:67], v2 offset:1024                      // 0000000099AC: DBFE0400 40000002
	ds_read_b128 a[68:71], v2 offset:1088                      // 0000000099B4: DBFE0440 44000002
	v_mfma_i32_16x16x32_i8 v[120:123], a[134:135], a[14:15], v[120:123]// 0000000099BC: D3D70078 1DE21D86
	v_mfma_i32_16x16x32_i8 v[144:147], a[136:137], a[8:9], v[144:147]// 0000000099C4: D3D70090 1E421188
	buffer_load_dwordx4 a[124:127], v67, s[84:87], 0 offen offset:1024// 0000000099CC: E05C1400 80957C43
	v_mfma_i32_16x16x32_i8 v[144:147], a[138:139], a[10:11], v[144:147]// 0000000099D4: D3D70090 1E42158A
	v_mfma_i32_16x16x32_i8 v[144:147], a[140:141], a[12:13], v[144:147]// 0000000099DC: D3D70090 1E42198C
	ds_read_b128 a[72:75], v2 offset:1536                      // 0000000099E4: DBFE0600 48000002
	ds_read_b128 a[76:79], v2 offset:1600                      // 0000000099EC: DBFE0640 4C000002
	v_mfma_i32_16x16x32_i8 v[144:147], a[142:143], a[14:15], v[144:147]// 0000000099F4: D3D70090 1E421D8E
	v_mfma_i32_16x16x32_i8 v[124:127], a[128:129], a[16:17], v[124:127]// 0000000099FC: D3D7007C 1DF22180
	v_mfma_i32_16x16x32_i8 v[124:127], a[130:131], a[18:19], v[124:127]// 000000009A04: D3D7007C 1DF22582
	v_mfma_i32_16x16x32_i8 v[124:127], a[132:133], a[20:21], v[124:127]// 000000009A0C: D3D7007C 1DF22984
	ds_read_b128 a[80:83], v2 offset:2048                      // 000000009A14: DBFE0800 50000002
	ds_read_b128 a[84:87], v2 offset:2112                      // 000000009A1C: DBFE0840 54000002
	v_mfma_i32_16x16x32_i8 v[124:127], a[134:135], a[22:23], v[124:127]// 000000009A24: D3D7007C 1DF22D86
	v_mfma_i32_16x16x32_i8 v[148:151], a[136:137], a[16:17], v[148:151]// 000000009A2C: D3D70094 1E522188
	v_mfma_i32_16x16x32_i8 v[148:151], a[138:139], a[18:19], v[148:151]// 000000009A34: D3D70094 1E52258A
	v_mfma_i32_16x16x32_i8 v[148:151], a[140:141], a[20:21], v[148:151]// 000000009A3C: D3D70094 1E52298C
	ds_read_b128 a[88:91], v2 offset:2560                      // 000000009A44: DBFE0A00 58000002
	ds_read_b128 a[92:95], v2 offset:2624                      // 000000009A4C: DBFE0A40 5C000002
	v_mfma_i32_16x16x32_i8 v[148:151], a[142:143], a[22:23], v[148:151]// 000000009A54: D3D70094 1E522D8E
	v_mfma_i32_16x16x32_i8 v[128:131], a[128:129], a[24:25], v[128:131]// 000000009A5C: D3D70080 1E023180
	v_mfma_i32_16x16x32_i8 v[128:131], a[130:131], a[26:27], v[128:131]// 000000009A64: D3D70080 1E023582
	v_mfma_i32_16x16x32_i8 v[128:131], a[132:133], a[28:29], v[128:131]// 000000009A6C: D3D70080 1E023984
	v_mfma_i32_16x16x32_i8 v[128:131], a[134:135], a[30:31], v[128:131]// 000000009A74: D3D70080 1E023D86
	v_mfma_i32_16x16x32_i8 v[152:155], a[136:137], a[24:25], v[152:155]// 000000009A7C: D3D70098 1E623188
	v_mfma_i32_16x16x32_i8 v[152:155], a[138:139], a[26:27], v[152:155]// 000000009A84: D3D70098 1E62358A
	v_mfma_i32_16x16x32_i8 v[152:155], a[140:141], a[28:29], v[152:155]// 000000009A8C: D3D70098 1E62398C
	v_mfma_i32_16x16x32_i8 v[152:155], a[142:143], a[30:31], v[152:155]// 000000009A94: D3D70098 1E623D8E
	v_mfma_i32_16x16x32_i8 v[132:135], a[128:129], a[32:33], v[132:135]// 000000009A9C: D3D70084 1E124180
	v_mfma_i32_16x16x32_i8 v[132:135], a[130:131], a[34:35], v[132:135]// 000000009AA4: D3D70084 1E124582
	v_mfma_i32_16x16x32_i8 v[132:135], a[132:133], a[36:37], v[132:135]// 000000009AAC: D3D70084 1E124984
	v_mfma_i32_16x16x32_i8 v[132:135], a[134:135], a[38:39], v[132:135]// 000000009AB4: D3D70084 1E124D86
	v_mfma_i32_16x16x32_i8 v[156:159], a[136:137], a[32:33], v[156:159]// 000000009ABC: D3D7009C 1E724188
	v_mfma_i32_16x16x32_i8 v[156:159], a[138:139], a[34:35], v[156:159]// 000000009AC4: D3D7009C 1E72458A
	v_mfma_i32_16x16x32_i8 v[156:159], a[140:141], a[36:37], v[156:159]// 000000009ACC: D3D7009C 1E72498C
	v_mfma_i32_16x16x32_i8 v[156:159], a[142:143], a[38:39], v[156:159]// 000000009AD4: D3D7009C 1E724D8E
	v_mfma_i32_16x16x32_i8 v[136:139], a[128:129], a[40:41], v[136:139]// 000000009ADC: D3D70088 1E225180
	s_add_u32 s60, 0x180, s80                                  // 000000009AE4: 803C50FF 00000180
	s_cmp_lt_u32 s60, s81                                      // 000000009AEC: BF0A513C
	s_cselect_b32 s57, s57, 0                                  // 000000009AF0: 85398039
	v_mfma_i32_16x16x32_i8 v[136:139], a[130:131], a[42:43], v[136:139]// 000000009AF4: D3D70088 1E225582
	s_add_u32 s60, 0x100, s80                                  // 000000009AFC: 803C50FF 00000100
	s_cmp_lt_u32 s60, s81                                      // 000000009B04: BF0A513C
	s_cselect_b32 s58, s58, 0                                  // 000000009B08: 853A803A
	v_mfma_i32_16x16x32_i8 v[136:139], a[132:133], a[44:45], v[136:139]// 000000009B0C: D3D70088 1E225984
	s_add_u32 s60, 0x100, s80                                  // 000000009B14: 803C50FF 00000100
	s_cmp_lt_u32 s60, s81                                      // 000000009B1C: BF0A513C
	s_cselect_b32 s83, s83, 0                                  // 000000009B20: 85538053
	v_mfma_i32_16x16x32_i8 v[136:139], a[134:135], a[46:47], v[136:139]// 000000009B24: D3D70088 1E225D86
	s_add_u32 s24, s58, s24                                    // 000000009B2C: 8018183A
	s_addc_u32 s25, 0, s25                                     // 000000009B30: 82191980
	v_mfma_i32_16x16x32_i8 v[160:163], a[136:137], a[40:41], v[160:163]// 000000009B34: D3D700A0 1E825188
	s_add_u32 s20, s57, s20                                    // 000000009B3C: 80141439
	s_addc_u32 s21, 0, s21                                     // 000000009B40: 82151580
	v_mfma_i32_16x16x32_i8 v[160:163], a[138:139], a[42:43], v[160:163]// 000000009B44: D3D700A0 1E82558A
	s_add_u32 s84, s83, s84                                    // 000000009B4C: 80545453
	s_addc_u32 s85, 0, s85                                     // 000000009B50: 82555580
	v_mfma_i32_16x16x32_i8 v[160:163], a[140:141], a[44:45], v[160:163]// 000000009B54: D3D700A0 1E82598C
	v_mfma_i32_16x16x32_i8 v[160:163], a[142:143], a[46:47], v[160:163]// 000000009B5C: D3D700A0 1E825D8E
	s_addk_i32 s80, 0x80                                       // 000000009B64: B7500080
	s_cmp_lt_i32 s80, s81                                      // 000000009B68: BF045150
	s_cbranch_scc0 label_1FED                                  // 000000009B6C: BF84038E
	s_waitcnt vmcnt(16) lgkmcnt(0)                             // 000000009B70: BF8C4070
	v_mfma_i32_16x16x32_i8 v[68:71], a[96:97], a[48:49], v[68:71]// 000000009B74: D3D70044 1D126160
	buffer_load_dwordx4 a[128:131], v66, s[24:27], 0 offen     // 000000009B7C: E05C1000 80868042
	v_mfma_i32_16x16x32_i8 v[68:71], a[98:99], a[50:51], v[68:71]// 000000009B84: D3D70044 1D126562
	v_mfma_i32_16x16x32_i8 v[68:71], a[100:101], a[52:53], v[68:71]// 000000009B8C: D3D70044 1D126964
	v_mfma_i32_16x16x32_i8 v[68:71], a[102:103], a[54:55], v[68:71]// 000000009B94: D3D70044 1D126D66
	v_mfma_i32_16x16x32_i8 v[92:95], a[104:105], a[48:49], v[92:95]// 000000009B9C: D3D7005C 1D726168
	buffer_load_dwordx4 a[132:135], v66, s[24:27], 0 offen offset:1024// 000000009BA4: E05C1400 80868442
	v_mfma_i32_16x16x32_i8 v[92:95], a[106:107], a[50:51], v[92:95]// 000000009BAC: D3D7005C 1D72656A
	v_mfma_i32_16x16x32_i8 v[92:95], a[108:109], a[52:53], v[92:95]// 000000009BB4: D3D7005C 1D72696C
	v_mfma_i32_16x16x32_i8 v[92:95], a[110:111], a[54:55], v[92:95]// 000000009BBC: D3D7005C 1D726D6E
	v_mfma_i32_16x16x32_i8 v[72:75], a[96:97], a[56:57], v[72:75]// 000000009BC4: D3D70048 1D227160
	buffer_load_dwordx4 a[136:139], v67, s[24:27], 0 offen     // 000000009BCC: E05C1000 80868843
	v_mfma_i32_16x16x32_i8 v[72:75], a[98:99], a[58:59], v[72:75]// 000000009BD4: D3D70048 1D227562
	v_mfma_i32_16x16x32_i8 v[72:75], a[100:101], a[60:61], v[72:75]// 000000009BDC: D3D70048 1D227964
	v_mfma_i32_16x16x32_i8 v[72:75], a[102:103], a[62:63], v[72:75]// 000000009BE4: D3D70048 1D227D66
	v_mfma_i32_16x16x32_i8 v[96:99], a[104:105], a[56:57], v[96:99]// 000000009BEC: D3D70060 1D827168
	buffer_load_dwordx4 a[140:143], v67, s[24:27], 0 offen offset:1024// 000000009BF4: E05C1400 80868C43
	buffer_load_dword v54, s[20:23], 0 offen lds               // 000000009BFC: E0511000 80050036
	s_add_u32 m0, 0x100, s50                                   // 000000009C04: 807C32FF 00000100
	v_mfma_i32_16x16x32_i8 v[96:99], a[106:107], a[58:59], v[96:99]// 000000009C0C: D3D70060 1D82756A
	v_mfma_i32_16x16x32_i8 v[96:99], a[108:109], a[60:61], v[96:99]// 000000009C14: D3D70060 1D82796C
	buffer_load_dword v55, s[20:23], 0 offen lds               // 000000009C1C: E0511000 80050037
	s_add_u32 m0, 0x200, s50                                   // 000000009C24: 807C32FF 00000200
	v_mfma_i32_16x16x32_i8 v[96:99], a[110:111], a[62:63], v[96:99]// 000000009C2C: D3D70060 1D827D6E
	v_mfma_i32_16x16x32_i8 v[76:79], a[96:97], a[64:65], v[76:79]// 000000009C34: D3D7004C 1D328160
	buffer_load_dword v56, s[20:23], 0 offen lds               // 000000009C3C: E0511000 80050038
	s_add_u32 m0, 0x300, s50                                   // 000000009C44: 807C32FF 00000300
	v_mfma_i32_16x16x32_i8 v[76:79], a[98:99], a[66:67], v[76:79]// 000000009C4C: D3D7004C 1D328562
	v_mfma_i32_16x16x32_i8 v[76:79], a[100:101], a[68:69], v[76:79]// 000000009C54: D3D7004C 1D328964
	buffer_load_dword v57, s[20:23], 0 offen lds               // 000000009C5C: E0511000 80050039
	s_add_u32 m0, 0x400, s50                                   // 000000009C64: 807C32FF 00000400
	v_mfma_i32_16x16x32_i8 v[76:79], a[102:103], a[70:71], v[76:79]// 000000009C6C: D3D7004C 1D328D66
	v_mfma_i32_16x16x32_i8 v[100:103], a[104:105], a[64:65], v[100:103]// 000000009C74: D3D70064 1D928168
	buffer_load_dword v58, s[20:23], 0 offen lds               // 000000009C7C: E0511000 8005003A
	s_add_u32 m0, 0x500, s50                                   // 000000009C84: 807C32FF 00000500
	v_mfma_i32_16x16x32_i8 v[100:103], a[106:107], a[66:67], v[100:103]// 000000009C8C: D3D70064 1D92856A
	v_mfma_i32_16x16x32_i8 v[100:103], a[108:109], a[68:69], v[100:103]// 000000009C94: D3D70064 1D92896C
	buffer_load_dword v59, s[20:23], 0 offen lds               // 000000009C9C: E0511000 8005003B
	s_add_u32 m0, 0x600, s50                                   // 000000009CA4: 807C32FF 00000600
	v_mfma_i32_16x16x32_i8 v[100:103], a[110:111], a[70:71], v[100:103]// 000000009CAC: D3D70064 1D928D6E
	v_mfma_i32_16x16x32_i8 v[80:83], a[96:97], a[72:73], v[80:83]// 000000009CB4: D3D70050 1D429160
	buffer_load_dword v60, s[20:23], 0 offen lds               // 000000009CBC: E0511000 8005003C
	s_add_u32 m0, 0x700, s50                                   // 000000009CC4: 807C32FF 00000700
	v_mfma_i32_16x16x32_i8 v[80:83], a[98:99], a[74:75], v[80:83]// 000000009CCC: D3D70050 1D429562
	v_mfma_i32_16x16x32_i8 v[80:83], a[100:101], a[76:77], v[80:83]// 000000009CD4: D3D70050 1D429964
	buffer_load_dword v61, s[20:23], 0 offen lds               // 000000009CDC: E0511000 8005003D
	s_add_u32 m0, 0x800, s50                                   // 000000009CE4: 807C32FF 00000800
	v_mfma_i32_16x16x32_i8 v[80:83], a[102:103], a[78:79], v[80:83]// 000000009CEC: D3D70050 1D429D66
	v_mfma_i32_16x16x32_i8 v[104:107], a[104:105], a[72:73], v[104:107]// 000000009CF4: D3D70068 1DA29168
	buffer_load_dword v62, s[20:23], 0 offen lds               // 000000009CFC: E0511000 8005003E
	s_add_u32 m0, 0x900, s50                                   // 000000009D04: 807C32FF 00000900
	v_mfma_i32_16x16x32_i8 v[104:107], a[106:107], a[74:75], v[104:107]// 000000009D0C: D3D70068 1DA2956A
	v_mfma_i32_16x16x32_i8 v[104:107], a[108:109], a[76:77], v[104:107]// 000000009D14: D3D70068 1DA2996C
	buffer_load_dword v63, s[20:23], 0 offen lds               // 000000009D1C: E0511000 8005003F
	s_add_u32 m0, 0xa00, s50                                   // 000000009D24: 807C32FF 00000A00
	v_mfma_i32_16x16x32_i8 v[104:107], a[110:111], a[78:79], v[104:107]// 000000009D2C: D3D70068 1DA29D6E
	v_mfma_i32_16x16x32_i8 v[84:87], a[96:97], a[80:81], v[84:87]// 000000009D34: D3D70054 1D52A160
	buffer_load_dword v64, s[20:23], 0 offen lds               // 000000009D3C: E0511000 80050040
	s_add_u32 m0, 0xb00, s50                                   // 000000009D44: 807C32FF 00000B00
	v_mfma_i32_16x16x32_i8 v[84:87], a[98:99], a[82:83], v[84:87]// 000000009D4C: D3D70054 1D52A562
	v_mfma_i32_16x16x32_i8 v[84:87], a[100:101], a[84:85], v[84:87]// 000000009D54: D3D70054 1D52A964
	buffer_load_dword v65, s[20:23], 0 offen lds               // 000000009D5C: E0511000 80050041
	s_add_u32 m0, 0, s48                                       // 000000009D64: 807C3080
	v_mfma_i32_16x16x32_i8 v[84:87], a[102:103], a[86:87], v[84:87]// 000000009D68: D3D70054 1D52AD66
	v_mfma_i32_16x16x32_i8 v[108:111], a[104:105], a[80:81], v[108:111]// 000000009D70: D3D7006C 1DB2A168
	v_mfma_i32_16x16x32_i8 v[108:111], a[106:107], a[82:83], v[108:111]// 000000009D78: D3D7006C 1DB2A56A
	v_mfma_i32_16x16x32_i8 v[108:111], a[108:109], a[84:85], v[108:111]// 000000009D80: D3D7006C 1DB2A96C
	v_mfma_i32_16x16x32_i8 v[108:111], a[110:111], a[86:87], v[108:111]// 000000009D88: D3D7006C 1DB2AD6E
	v_mfma_i32_16x16x32_i8 v[88:91], a[96:97], a[88:89], v[88:91]// 000000009D90: D3D70058 1D62B160
	v_mfma_i32_16x16x32_i8 v[88:91], a[98:99], a[90:91], v[88:91]// 000000009D98: D3D70058 1D62B562
	v_mfma_i32_16x16x32_i8 v[88:91], a[100:101], a[92:93], v[88:91]// 000000009DA0: D3D70058 1D62B964
	v_mfma_i32_16x16x32_i8 v[88:91], a[102:103], a[94:95], v[88:91]// 000000009DA8: D3D70058 1D62BD66
	v_mfma_i32_16x16x32_i8 v[112:115], a[104:105], a[88:89], v[112:115]// 000000009DB0: D3D70070 1DC2B168
	v_mfma_i32_16x16x32_i8 v[112:115], a[106:107], a[90:91], v[112:115]// 000000009DB8: D3D70070 1DC2B56A
	v_mfma_i32_16x16x32_i8 v[112:115], a[108:109], a[92:93], v[112:115]// 000000009DC0: D3D70070 1DC2B96C
	v_mfma_i32_16x16x32_i8 v[112:115], a[110:111], a[94:95], v[112:115]// 000000009DC8: D3D70070 1DC2BD6E
	s_waitcnt vmcnt(16)                                        // 000000009DD0: BF8C4F70
	s_barrier                                                  // 000000009DD4: BF8A0000
	v_mfma_i32_16x16x32_i8 v[116:119], a[112:113], a[48:49], v[116:119]// 000000009DD8: D3D70074 1DD26170
	buffer_load_dwordx4 a[96:99], v66, s[84:87], 0 offen       // 000000009DE0: E05C1000 80956042
	v_mfma_i32_16x16x32_i8 v[116:119], a[114:115], a[50:51], v[116:119]// 000000009DE8: D3D70074 1DD26572
	v_mfma_i32_16x16x32_i8 v[116:119], a[116:117], a[52:53], v[116:119]// 000000009DF0: D3D70074 1DD26974
	ds_read_b128 a[0:3], v2 offset:12416                       // 000000009DF8: DBFE3080 00000002
	ds_read_b128 a[4:7], v2 offset:12480                       // 000000009E00: DBFE30C0 04000002
	v_mfma_i32_16x16x32_i8 v[116:119], a[118:119], a[54:55], v[116:119]// 000000009E08: D3D70074 1DD26D76
	v_mfma_i32_16x16x32_i8 v[140:143], a[120:121], a[48:49], v[140:143]// 000000009E10: D3D7008C 1E326178
	buffer_load_dwordx4 a[100:103], v66, s[84:87], 0 offen offset:1024// 000000009E18: E05C1400 80956442
	v_mfma_i32_16x16x32_i8 v[140:143], a[122:123], a[50:51], v[140:143]// 000000009E20: D3D7008C 1E32657A
	v_mfma_i32_16x16x32_i8 v[140:143], a[124:125], a[52:53], v[140:143]// 000000009E28: D3D7008C 1E32697C
	ds_read_b128 a[8:11], v2 offset:12928                      // 000000009E30: DBFE3280 08000002
	ds_read_b128 a[12:15], v2 offset:12992                     // 000000009E38: DBFE32C0 0C000002
	v_mfma_i32_16x16x32_i8 v[140:143], a[126:127], a[54:55], v[140:143]// 000000009E40: D3D7008C 1E326D7E
	v_mfma_i32_16x16x32_i8 v[120:123], a[112:113], a[56:57], v[120:123]// 000000009E48: D3D70078 1DE27170
	buffer_load_dwordx4 a[104:107], v67, s[84:87], 0 offen     // 000000009E50: E05C1000 80956843
	v_mfma_i32_16x16x32_i8 v[120:123], a[114:115], a[58:59], v[120:123]// 000000009E58: D3D70078 1DE27572
	v_mfma_i32_16x16x32_i8 v[120:123], a[116:117], a[60:61], v[120:123]// 000000009E60: D3D70078 1DE27974
	ds_read_b128 a[16:19], v2 offset:13440                     // 000000009E68: DBFE3480 10000002
	ds_read_b128 a[20:23], v2 offset:13504                     // 000000009E70: DBFE34C0 14000002
	v_mfma_i32_16x16x32_i8 v[120:123], a[118:119], a[62:63], v[120:123]// 000000009E78: D3D70078 1DE27D76
	v_mfma_i32_16x16x32_i8 v[144:147], a[120:121], a[56:57], v[144:147]// 000000009E80: D3D70090 1E427178
	buffer_load_dwordx4 a[108:111], v67, s[84:87], 0 offen offset:1024// 000000009E88: E05C1400 80956C43
	v_mfma_i32_16x16x32_i8 v[144:147], a[122:123], a[58:59], v[144:147]// 000000009E90: D3D70090 1E42757A
	v_mfma_i32_16x16x32_i8 v[144:147], a[124:125], a[60:61], v[144:147]// 000000009E98: D3D70090 1E42797C
	ds_read_b128 a[24:27], v2 offset:13952                     // 000000009EA0: DBFE3680 18000002
	ds_read_b128 a[28:31], v2 offset:14016                     // 000000009EA8: DBFE36C0 1C000002
	v_mfma_i32_16x16x32_i8 v[144:147], a[126:127], a[62:63], v[144:147]// 000000009EB0: D3D70090 1E427D7E
	v_mfma_i32_16x16x32_i8 v[124:127], a[112:113], a[64:65], v[124:127]// 000000009EB8: D3D7007C 1DF28170
	v_mfma_i32_16x16x32_i8 v[124:127], a[114:115], a[66:67], v[124:127]// 000000009EC0: D3D7007C 1DF28572
	v_mfma_i32_16x16x32_i8 v[124:127], a[116:117], a[68:69], v[124:127]// 000000009EC8: D3D7007C 1DF28974
	ds_read_b128 a[32:35], v2 offset:14464                     // 000000009ED0: DBFE3880 20000002
	ds_read_b128 a[36:39], v2 offset:14528                     // 000000009ED8: DBFE38C0 24000002
	v_mfma_i32_16x16x32_i8 v[124:127], a[118:119], a[70:71], v[124:127]// 000000009EE0: D3D7007C 1DF28D76
	v_mfma_i32_16x16x32_i8 v[148:151], a[120:121], a[64:65], v[148:151]// 000000009EE8: D3D70094 1E528178
	v_mfma_i32_16x16x32_i8 v[148:151], a[122:123], a[66:67], v[148:151]// 000000009EF0: D3D70094 1E52857A
	v_mfma_i32_16x16x32_i8 v[148:151], a[124:125], a[68:69], v[148:151]// 000000009EF8: D3D70094 1E52897C
	ds_read_b128 a[40:43], v2 offset:14976                     // 000000009F00: DBFE3A80 28000002
	ds_read_b128 a[44:47], v2 offset:15040                     // 000000009F08: DBFE3AC0 2C000002
	v_mfma_i32_16x16x32_i8 v[148:151], a[126:127], a[70:71], v[148:151]// 000000009F10: D3D70094 1E528D7E
	v_mfma_i32_16x16x32_i8 v[128:131], a[112:113], a[72:73], v[128:131]// 000000009F18: D3D70080 1E029170
	v_mfma_i32_16x16x32_i8 v[128:131], a[114:115], a[74:75], v[128:131]// 000000009F20: D3D70080 1E029572
	v_mfma_i32_16x16x32_i8 v[128:131], a[116:117], a[76:77], v[128:131]// 000000009F28: D3D70080 1E029974
	v_mfma_i32_16x16x32_i8 v[128:131], a[118:119], a[78:79], v[128:131]// 000000009F30: D3D70080 1E029D76
	v_mfma_i32_16x16x32_i8 v[152:155], a[120:121], a[72:73], v[152:155]// 000000009F38: D3D70098 1E629178
	v_mfma_i32_16x16x32_i8 v[152:155], a[122:123], a[74:75], v[152:155]// 000000009F40: D3D70098 1E62957A
	v_mfma_i32_16x16x32_i8 v[152:155], a[124:125], a[76:77], v[152:155]// 000000009F48: D3D70098 1E62997C
	v_mfma_i32_16x16x32_i8 v[152:155], a[126:127], a[78:79], v[152:155]// 000000009F50: D3D70098 1E629D7E
	v_mfma_i32_16x16x32_i8 v[132:135], a[112:113], a[80:81], v[132:135]// 000000009F58: D3D70084 1E12A170
	v_mfma_i32_16x16x32_i8 v[132:135], a[114:115], a[82:83], v[132:135]// 000000009F60: D3D70084 1E12A572
	v_mfma_i32_16x16x32_i8 v[132:135], a[116:117], a[84:85], v[132:135]// 000000009F68: D3D70084 1E12A974
	v_mfma_i32_16x16x32_i8 v[132:135], a[118:119], a[86:87], v[132:135]// 000000009F70: D3D70084 1E12AD76
	v_mfma_i32_16x16x32_i8 v[156:159], a[120:121], a[80:81], v[156:159]// 000000009F78: D3D7009C 1E72A178
	v_mfma_i32_16x16x32_i8 v[156:159], a[122:123], a[82:83], v[156:159]// 000000009F80: D3D7009C 1E72A57A
	v_mfma_i32_16x16x32_i8 v[156:159], a[124:125], a[84:85], v[156:159]// 000000009F88: D3D7009C 1E72A97C
	v_mfma_i32_16x16x32_i8 v[156:159], a[126:127], a[86:87], v[156:159]// 000000009F90: D3D7009C 1E72AD7E
	v_mfma_i32_16x16x32_i8 v[136:139], a[112:113], a[88:89], v[136:139]// 000000009F98: D3D70088 1E22B170
	s_add_u32 s60, 0x180, s80                                  // 000000009FA0: 803C50FF 00000180
	s_cmp_lt_u32 s60, s81                                      // 000000009FA8: BF0A513C
	s_cselect_b32 s57, s57, 0                                  // 000000009FAC: 85398039
	v_mfma_i32_16x16x32_i8 v[136:139], a[114:115], a[90:91], v[136:139]// 000000009FB0: D3D70088 1E22B572
	s_add_u32 s60, 0x100, s80                                  // 000000009FB8: 803C50FF 00000100
	s_cmp_lt_u32 s60, s81                                      // 000000009FC0: BF0A513C
	s_cselect_b32 s58, s58, 0                                  // 000000009FC4: 853A803A
	v_mfma_i32_16x16x32_i8 v[136:139], a[116:117], a[92:93], v[136:139]// 000000009FC8: D3D70088 1E22B974
	s_add_u32 s60, 0x100, s80                                  // 000000009FD0: 803C50FF 00000100
	s_cmp_lt_u32 s60, s81                                      // 000000009FD8: BF0A513C
	s_cselect_b32 s83, s83, 0                                  // 000000009FDC: 85538053
	v_mfma_i32_16x16x32_i8 v[136:139], a[118:119], a[94:95], v[136:139]// 000000009FE0: D3D70088 1E22BD76
	s_add_u32 s24, s58, s24                                    // 000000009FE8: 8018183A
	s_addc_u32 s25, 0, s25                                     // 000000009FEC: 82191980
	v_mfma_i32_16x16x32_i8 v[160:163], a[120:121], a[88:89], v[160:163]// 000000009FF0: D3D700A0 1E82B178
	s_add_u32 s20, s57, s20                                    // 000000009FF8: 80141439
	s_addc_u32 s21, 0, s21                                     // 000000009FFC: 82151580
	v_mfma_i32_16x16x32_i8 v[160:163], a[122:123], a[90:91], v[160:163]// 00000000A000: D3D700A0 1E82B57A
	s_add_u32 s84, s83, s84                                    // 00000000A008: 80545453
	s_addc_u32 s85, 0, s85                                     // 00000000A00C: 82555580
	v_mfma_i32_16x16x32_i8 v[160:163], a[124:125], a[92:93], v[160:163]// 00000000A010: D3D700A0 1E82B97C
	v_mfma_i32_16x16x32_i8 v[160:163], a[126:127], a[94:95], v[160:163]// 00000000A018: D3D700A0 1E82BD7E
	s_addk_i32 s80, 0x80                                       // 00000000A020: B7500080
	s_cmp_lt_i32 s80, s81                                      // 00000000A024: BF045150
	s_cbranch_scc0 label_1FED                                  // 00000000A028: BF84025F
	s_waitcnt vmcnt(16) lgkmcnt(0)                             // 00000000A02C: BF8C4070
	v_mfma_i32_16x16x32_i8 v[68:71], a[128:129], a[0:1], v[68:71]// 00000000A030: D3D70044 1D120180
	buffer_load_dwordx4 a[112:115], v66, s[24:27], 0 offen     // 00000000A038: E05C1000 80867042
	v_mfma_i32_16x16x32_i8 v[68:71], a[130:131], a[2:3], v[68:71]// 00000000A040: D3D70044 1D120582
	v_mfma_i32_16x16x32_i8 v[68:71], a[132:133], a[4:5], v[68:71]// 00000000A048: D3D70044 1D120984
	v_mfma_i32_16x16x32_i8 v[68:71], a[134:135], a[6:7], v[68:71]// 00000000A050: D3D70044 1D120D86
	v_mfma_i32_16x16x32_i8 v[92:95], a[136:137], a[0:1], v[92:95]// 00000000A058: D3D7005C 1D720188
	buffer_load_dwordx4 a[116:119], v66, s[24:27], 0 offen offset:1024// 00000000A060: E05C1400 80867442
	v_mfma_i32_16x16x32_i8 v[92:95], a[138:139], a[2:3], v[92:95]// 00000000A068: D3D7005C 1D72058A
	v_mfma_i32_16x16x32_i8 v[92:95], a[140:141], a[4:5], v[92:95]// 00000000A070: D3D7005C 1D72098C
	v_mfma_i32_16x16x32_i8 v[92:95], a[142:143], a[6:7], v[92:95]// 00000000A078: D3D7005C 1D720D8E
	v_mfma_i32_16x16x32_i8 v[72:75], a[128:129], a[8:9], v[72:75]// 00000000A080: D3D70048 1D221180
	buffer_load_dwordx4 a[120:123], v67, s[24:27], 0 offen     // 00000000A088: E05C1000 80867843
	v_mfma_i32_16x16x32_i8 v[72:75], a[130:131], a[10:11], v[72:75]// 00000000A090: D3D70048 1D221582
	v_mfma_i32_16x16x32_i8 v[72:75], a[132:133], a[12:13], v[72:75]// 00000000A098: D3D70048 1D221984
	v_mfma_i32_16x16x32_i8 v[72:75], a[134:135], a[14:15], v[72:75]// 00000000A0A0: D3D70048 1D221D86
	v_mfma_i32_16x16x32_i8 v[96:99], a[136:137], a[8:9], v[96:99]// 00000000A0A8: D3D70060 1D821188
	buffer_load_dwordx4 a[124:127], v67, s[24:27], 0 offen offset:1024// 00000000A0B0: E05C1400 80867C43
	buffer_load_dword v54, s[20:23], 0 offen lds               // 00000000A0B8: E0511000 80050036
	s_add_u32 m0, 0x100, s48                                   // 00000000A0C0: 807C30FF 00000100
	v_mfma_i32_16x16x32_i8 v[96:99], a[138:139], a[10:11], v[96:99]// 00000000A0C8: D3D70060 1D82158A
	v_mfma_i32_16x16x32_i8 v[96:99], a[140:141], a[12:13], v[96:99]// 00000000A0D0: D3D70060 1D82198C
	buffer_load_dword v55, s[20:23], 0 offen lds               // 00000000A0D8: E0511000 80050037
	s_add_u32 m0, 0x200, s48                                   // 00000000A0E0: 807C30FF 00000200
	v_mfma_i32_16x16x32_i8 v[96:99], a[142:143], a[14:15], v[96:99]// 00000000A0E8: D3D70060 1D821D8E
	v_mfma_i32_16x16x32_i8 v[76:79], a[128:129], a[16:17], v[76:79]// 00000000A0F0: D3D7004C 1D322180
	buffer_load_dword v56, s[20:23], 0 offen lds               // 00000000A0F8: E0511000 80050038
	s_add_u32 m0, 0x300, s48                                   // 00000000A100: 807C30FF 00000300
	v_mfma_i32_16x16x32_i8 v[76:79], a[130:131], a[18:19], v[76:79]// 00000000A108: D3D7004C 1D322582
	v_mfma_i32_16x16x32_i8 v[76:79], a[132:133], a[20:21], v[76:79]// 00000000A110: D3D7004C 1D322984
	buffer_load_dword v57, s[20:23], 0 offen lds               // 00000000A118: E0511000 80050039
	s_add_u32 m0, 0x400, s48                                   // 00000000A120: 807C30FF 00000400
	v_mfma_i32_16x16x32_i8 v[76:79], a[134:135], a[22:23], v[76:79]// 00000000A128: D3D7004C 1D322D86
	v_mfma_i32_16x16x32_i8 v[100:103], a[136:137], a[16:17], v[100:103]// 00000000A130: D3D70064 1D922188
	buffer_load_dword v58, s[20:23], 0 offen lds               // 00000000A138: E0511000 8005003A
	s_add_u32 m0, 0x500, s48                                   // 00000000A140: 807C30FF 00000500
	v_mfma_i32_16x16x32_i8 v[100:103], a[138:139], a[18:19], v[100:103]// 00000000A148: D3D70064 1D92258A
	v_mfma_i32_16x16x32_i8 v[100:103], a[140:141], a[20:21], v[100:103]// 00000000A150: D3D70064 1D92298C
	buffer_load_dword v59, s[20:23], 0 offen lds               // 00000000A158: E0511000 8005003B
	s_add_u32 m0, 0x600, s48                                   // 00000000A160: 807C30FF 00000600
	v_mfma_i32_16x16x32_i8 v[100:103], a[142:143], a[22:23], v[100:103]// 00000000A168: D3D70064 1D922D8E
	v_mfma_i32_16x16x32_i8 v[80:83], a[128:129], a[24:25], v[80:83]// 00000000A170: D3D70050 1D423180
	buffer_load_dword v60, s[20:23], 0 offen lds               // 00000000A178: E0511000 8005003C
	s_add_u32 m0, 0x700, s48                                   // 00000000A180: 807C30FF 00000700
	v_mfma_i32_16x16x32_i8 v[80:83], a[130:131], a[26:27], v[80:83]// 00000000A188: D3D70050 1D423582
	v_mfma_i32_16x16x32_i8 v[80:83], a[132:133], a[28:29], v[80:83]// 00000000A190: D3D70050 1D423984
	buffer_load_dword v61, s[20:23], 0 offen lds               // 00000000A198: E0511000 8005003D
	s_add_u32 m0, 0x800, s48                                   // 00000000A1A0: 807C30FF 00000800
	v_mfma_i32_16x16x32_i8 v[80:83], a[134:135], a[30:31], v[80:83]// 00000000A1A8: D3D70050 1D423D86
	v_mfma_i32_16x16x32_i8 v[104:107], a[136:137], a[24:25], v[104:107]// 00000000A1B0: D3D70068 1DA23188
	buffer_load_dword v62, s[20:23], 0 offen lds               // 00000000A1B8: E0511000 8005003E
	s_add_u32 m0, 0x900, s48                                   // 00000000A1C0: 807C30FF 00000900
	v_mfma_i32_16x16x32_i8 v[104:107], a[138:139], a[26:27], v[104:107]// 00000000A1C8: D3D70068 1DA2358A
	v_mfma_i32_16x16x32_i8 v[104:107], a[140:141], a[28:29], v[104:107]// 00000000A1D0: D3D70068 1DA2398C
	buffer_load_dword v63, s[20:23], 0 offen lds               // 00000000A1D8: E0511000 8005003F
	s_add_u32 m0, 0xa00, s48                                   // 00000000A1E0: 807C30FF 00000A00
	v_mfma_i32_16x16x32_i8 v[104:107], a[142:143], a[30:31], v[104:107]// 00000000A1E8: D3D70068 1DA23D8E
	v_mfma_i32_16x16x32_i8 v[84:87], a[128:129], a[32:33], v[84:87]// 00000000A1F0: D3D70054 1D524180
	buffer_load_dword v64, s[20:23], 0 offen lds               // 00000000A1F8: E0511000 80050040
	s_add_u32 m0, 0xb00, s48                                   // 00000000A200: 807C30FF 00000B00
	v_mfma_i32_16x16x32_i8 v[84:87], a[130:131], a[34:35], v[84:87]// 00000000A208: D3D70054 1D524582
	v_mfma_i32_16x16x32_i8 v[84:87], a[132:133], a[36:37], v[84:87]// 00000000A210: D3D70054 1D524984
	buffer_load_dword v65, s[20:23], 0 offen lds               // 00000000A218: E0511000 80050041
	s_add_u32 m0, 0, s49                                       // 00000000A220: 807C3180
	v_mfma_i32_16x16x32_i8 v[84:87], a[134:135], a[38:39], v[84:87]// 00000000A224: D3D70054 1D524D86
	v_mfma_i32_16x16x32_i8 v[108:111], a[136:137], a[32:33], v[108:111]// 00000000A22C: D3D7006C 1DB24188
	v_mfma_i32_16x16x32_i8 v[108:111], a[138:139], a[34:35], v[108:111]// 00000000A234: D3D7006C 1DB2458A
	v_mfma_i32_16x16x32_i8 v[108:111], a[140:141], a[36:37], v[108:111]// 00000000A23C: D3D7006C 1DB2498C
	v_mfma_i32_16x16x32_i8 v[108:111], a[142:143], a[38:39], v[108:111]// 00000000A244: D3D7006C 1DB24D8E
	v_mfma_i32_16x16x32_i8 v[88:91], a[128:129], a[40:41], v[88:91]// 00000000A24C: D3D70058 1D625180
	v_mfma_i32_16x16x32_i8 v[88:91], a[130:131], a[42:43], v[88:91]// 00000000A254: D3D70058 1D625582
	v_mfma_i32_16x16x32_i8 v[88:91], a[132:133], a[44:45], v[88:91]// 00000000A25C: D3D70058 1D625984
	v_mfma_i32_16x16x32_i8 v[88:91], a[134:135], a[46:47], v[88:91]// 00000000A264: D3D70058 1D625D86
	v_mfma_i32_16x16x32_i8 v[112:115], a[136:137], a[40:41], v[112:115]// 00000000A26C: D3D70070 1DC25188
	v_mfma_i32_16x16x32_i8 v[112:115], a[138:139], a[42:43], v[112:115]// 00000000A274: D3D70070 1DC2558A
	v_mfma_i32_16x16x32_i8 v[112:115], a[140:141], a[44:45], v[112:115]// 00000000A27C: D3D70070 1DC2598C
	v_mfma_i32_16x16x32_i8 v[112:115], a[142:143], a[46:47], v[112:115]// 00000000A284: D3D70070 1DC25D8E
	s_waitcnt vmcnt(16)                                        // 00000000A28C: BF8C4F70
	s_barrier                                                  // 00000000A290: BF8A0000
	v_mfma_i32_16x16x32_i8 v[116:119], a[96:97], a[0:1], v[116:119]// 00000000A294: D3D70074 1DD20160
	buffer_load_dwordx4 a[128:131], v66, s[84:87], 0 offen     // 00000000A29C: E05C1000 80958042
	v_mfma_i32_16x16x32_i8 v[116:119], a[98:99], a[2:3], v[116:119]// 00000000A2A4: D3D70074 1DD20562
	v_mfma_i32_16x16x32_i8 v[116:119], a[100:101], a[4:5], v[116:119]// 00000000A2AC: D3D70074 1DD20964
	ds_read_b128 a[48:51], v2 offset:24832                     // 00000000A2B4: DBFE6100 30000002
	ds_read_b128 a[52:55], v2 offset:24896                     // 00000000A2BC: DBFE6140 34000002
	v_mfma_i32_16x16x32_i8 v[116:119], a[102:103], a[6:7], v[116:119]// 00000000A2C4: D3D70074 1DD20D66
	v_mfma_i32_16x16x32_i8 v[140:143], a[104:105], a[0:1], v[140:143]// 00000000A2CC: D3D7008C 1E320168
	buffer_load_dwordx4 a[132:135], v66, s[84:87], 0 offen offset:1024// 00000000A2D4: E05C1400 80958442
	v_mfma_i32_16x16x32_i8 v[140:143], a[106:107], a[2:3], v[140:143]// 00000000A2DC: D3D7008C 1E32056A
	v_mfma_i32_16x16x32_i8 v[140:143], a[108:109], a[4:5], v[140:143]// 00000000A2E4: D3D7008C 1E32096C
	ds_read_b128 a[56:59], v2 offset:25344                     // 00000000A2EC: DBFE6300 38000002
	ds_read_b128 a[60:63], v2 offset:25408                     // 00000000A2F4: DBFE6340 3C000002
	v_mfma_i32_16x16x32_i8 v[140:143], a[110:111], a[6:7], v[140:143]// 00000000A2FC: D3D7008C 1E320D6E
	v_mfma_i32_16x16x32_i8 v[120:123], a[96:97], a[8:9], v[120:123]// 00000000A304: D3D70078 1DE21160
	buffer_load_dwordx4 a[136:139], v67, s[84:87], 0 offen     // 00000000A30C: E05C1000 80958843
	v_mfma_i32_16x16x32_i8 v[120:123], a[98:99], a[10:11], v[120:123]// 00000000A314: D3D70078 1DE21562
	v_mfma_i32_16x16x32_i8 v[120:123], a[100:101], a[12:13], v[120:123]// 00000000A31C: D3D70078 1DE21964
	ds_read_b128 a[64:67], v2 offset:25856                     // 00000000A324: DBFE6500 40000002
	ds_read_b128 a[68:71], v2 offset:25920                     // 00000000A32C: DBFE6540 44000002
	v_mfma_i32_16x16x32_i8 v[120:123], a[102:103], a[14:15], v[120:123]// 00000000A334: D3D70078 1DE21D66
	v_mfma_i32_16x16x32_i8 v[144:147], a[104:105], a[8:9], v[144:147]// 00000000A33C: D3D70090 1E421168
	buffer_load_dwordx4 a[140:143], v67, s[84:87], 0 offen offset:1024// 00000000A344: E05C1400 80958C43
	v_mfma_i32_16x16x32_i8 v[144:147], a[106:107], a[10:11], v[144:147]// 00000000A34C: D3D70090 1E42156A
	v_mfma_i32_16x16x32_i8 v[144:147], a[108:109], a[12:13], v[144:147]// 00000000A354: D3D70090 1E42196C
	ds_read_b128 a[72:75], v2 offset:26368                     // 00000000A35C: DBFE6700 48000002
	ds_read_b128 a[76:79], v2 offset:26432                     // 00000000A364: DBFE6740 4C000002
	v_mfma_i32_16x16x32_i8 v[144:147], a[110:111], a[14:15], v[144:147]// 00000000A36C: D3D70090 1E421D6E
	v_mfma_i32_16x16x32_i8 v[124:127], a[96:97], a[16:17], v[124:127]// 00000000A374: D3D7007C 1DF22160
	v_mfma_i32_16x16x32_i8 v[124:127], a[98:99], a[18:19], v[124:127]// 00000000A37C: D3D7007C 1DF22562
	v_mfma_i32_16x16x32_i8 v[124:127], a[100:101], a[20:21], v[124:127]// 00000000A384: D3D7007C 1DF22964
	ds_read_b128 a[80:83], v2 offset:26880                     // 00000000A38C: DBFE6900 50000002
	ds_read_b128 a[84:87], v2 offset:26944                     // 00000000A394: DBFE6940 54000002
	v_mfma_i32_16x16x32_i8 v[124:127], a[102:103], a[22:23], v[124:127]// 00000000A39C: D3D7007C 1DF22D66
	v_mfma_i32_16x16x32_i8 v[148:151], a[104:105], a[16:17], v[148:151]// 00000000A3A4: D3D70094 1E522168
	v_mfma_i32_16x16x32_i8 v[148:151], a[106:107], a[18:19], v[148:151]// 00000000A3AC: D3D70094 1E52256A
	v_mfma_i32_16x16x32_i8 v[148:151], a[108:109], a[20:21], v[148:151]// 00000000A3B4: D3D70094 1E52296C
	ds_read_b128 a[88:91], v2 offset:27392                     // 00000000A3BC: DBFE6B00 58000002
	ds_read_b128 a[92:95], v2 offset:27456                     // 00000000A3C4: DBFE6B40 5C000002
	v_mfma_i32_16x16x32_i8 v[148:151], a[110:111], a[22:23], v[148:151]// 00000000A3CC: D3D70094 1E522D6E
	v_mfma_i32_16x16x32_i8 v[128:131], a[96:97], a[24:25], v[128:131]// 00000000A3D4: D3D70080 1E023160
	v_mfma_i32_16x16x32_i8 v[128:131], a[98:99], a[26:27], v[128:131]// 00000000A3DC: D3D70080 1E023562
	v_mfma_i32_16x16x32_i8 v[128:131], a[100:101], a[28:29], v[128:131]// 00000000A3E4: D3D70080 1E023964
	v_mfma_i32_16x16x32_i8 v[128:131], a[102:103], a[30:31], v[128:131]// 00000000A3EC: D3D70080 1E023D66
	v_mfma_i32_16x16x32_i8 v[152:155], a[104:105], a[24:25], v[152:155]// 00000000A3F4: D3D70098 1E623168
	v_mfma_i32_16x16x32_i8 v[152:155], a[106:107], a[26:27], v[152:155]// 00000000A3FC: D3D70098 1E62356A
	v_mfma_i32_16x16x32_i8 v[152:155], a[108:109], a[28:29], v[152:155]// 00000000A404: D3D70098 1E62396C
	v_mfma_i32_16x16x32_i8 v[152:155], a[110:111], a[30:31], v[152:155]// 00000000A40C: D3D70098 1E623D6E
	v_mfma_i32_16x16x32_i8 v[132:135], a[96:97], a[32:33], v[132:135]// 00000000A414: D3D70084 1E124160
	v_mfma_i32_16x16x32_i8 v[132:135], a[98:99], a[34:35], v[132:135]// 00000000A41C: D3D70084 1E124562
	v_mfma_i32_16x16x32_i8 v[132:135], a[100:101], a[36:37], v[132:135]// 00000000A424: D3D70084 1E124964
	v_mfma_i32_16x16x32_i8 v[132:135], a[102:103], a[38:39], v[132:135]// 00000000A42C: D3D70084 1E124D66
	v_mfma_i32_16x16x32_i8 v[156:159], a[104:105], a[32:33], v[156:159]// 00000000A434: D3D7009C 1E724168
	v_mfma_i32_16x16x32_i8 v[156:159], a[106:107], a[34:35], v[156:159]// 00000000A43C: D3D7009C 1E72456A
	v_mfma_i32_16x16x32_i8 v[156:159], a[108:109], a[36:37], v[156:159]// 00000000A444: D3D7009C 1E72496C
	v_mfma_i32_16x16x32_i8 v[156:159], a[110:111], a[38:39], v[156:159]// 00000000A44C: D3D7009C 1E724D6E
	v_mfma_i32_16x16x32_i8 v[136:139], a[96:97], a[40:41], v[136:139]// 00000000A454: D3D70088 1E225160
	s_add_u32 s60, 0x180, s80                                  // 00000000A45C: 803C50FF 00000180
	s_cmp_lt_u32 s60, s81                                      // 00000000A464: BF0A513C
	s_cselect_b32 s57, s57, 0                                  // 00000000A468: 85398039
	v_mfma_i32_16x16x32_i8 v[136:139], a[98:99], a[42:43], v[136:139]// 00000000A46C: D3D70088 1E225562
	s_add_u32 s60, 0x100, s80                                  // 00000000A474: 803C50FF 00000100
	s_cmp_lt_u32 s60, s81                                      // 00000000A47C: BF0A513C
	s_cselect_b32 s58, s58, 0                                  // 00000000A480: 853A803A
	v_mfma_i32_16x16x32_i8 v[136:139], a[100:101], a[44:45], v[136:139]// 00000000A484: D3D70088 1E225964
	s_add_u32 s60, 0x100, s80                                  // 00000000A48C: 803C50FF 00000100
	s_cmp_lt_u32 s60, s81                                      // 00000000A494: BF0A513C
	s_cselect_b32 s83, s83, 0                                  // 00000000A498: 85538053
	v_mfma_i32_16x16x32_i8 v[136:139], a[102:103], a[46:47], v[136:139]// 00000000A49C: D3D70088 1E225D66
	s_add_u32 s24, s58, s24                                    // 00000000A4A4: 8018183A
	s_addc_u32 s25, 0, s25                                     // 00000000A4A8: 82191980
	v_mfma_i32_16x16x32_i8 v[160:163], a[104:105], a[40:41], v[160:163]// 00000000A4AC: D3D700A0 1E825168
	s_add_u32 s20, s57, s20                                    // 00000000A4B4: 80141439
	s_addc_u32 s21, 0, s21                                     // 00000000A4B8: 82151580
	v_mfma_i32_16x16x32_i8 v[160:163], a[106:107], a[42:43], v[160:163]// 00000000A4BC: D3D700A0 1E82556A
	s_add_u32 s84, s83, s84                                    // 00000000A4C4: 80545453
	s_addc_u32 s85, 0, s85                                     // 00000000A4C8: 82555580
	v_mfma_i32_16x16x32_i8 v[160:163], a[108:109], a[44:45], v[160:163]// 00000000A4CC: D3D700A0 1E82596C
	v_mfma_i32_16x16x32_i8 v[160:163], a[110:111], a[46:47], v[160:163]// 00000000A4D4: D3D700A0 1E825D6E
	s_addk_i32 s80, 0x80                                       // 00000000A4DC: B7500080
	s_cmp_lt_i32 s80, s81                                      // 00000000A4E0: BF045150
	s_cbranch_scc0 label_1FED                                  // 00000000A4E4: BF840130
	s_waitcnt vmcnt(16) lgkmcnt(0)                             // 00000000A4E8: BF8C4070
	v_mfma_i32_16x16x32_i8 v[68:71], a[112:113], a[48:49], v[68:71]// 00000000A4EC: D3D70044 1D126170
	buffer_load_dwordx4 a[96:99], v66, s[24:27], 0 offen       // 00000000A4F4: E05C1000 80866042
	v_mfma_i32_16x16x32_i8 v[68:71], a[114:115], a[50:51], v[68:71]// 00000000A4FC: D3D70044 1D126572
	v_mfma_i32_16x16x32_i8 v[68:71], a[116:117], a[52:53], v[68:71]// 00000000A504: D3D70044 1D126974
	v_mfma_i32_16x16x32_i8 v[68:71], a[118:119], a[54:55], v[68:71]// 00000000A50C: D3D70044 1D126D76
	v_mfma_i32_16x16x32_i8 v[92:95], a[120:121], a[48:49], v[92:95]// 00000000A514: D3D7005C 1D726178
	buffer_load_dwordx4 a[100:103], v66, s[24:27], 0 offen offset:1024// 00000000A51C: E05C1400 80866442
	v_mfma_i32_16x16x32_i8 v[92:95], a[122:123], a[50:51], v[92:95]// 00000000A524: D3D7005C 1D72657A
	v_mfma_i32_16x16x32_i8 v[92:95], a[124:125], a[52:53], v[92:95]// 00000000A52C: D3D7005C 1D72697C
	v_mfma_i32_16x16x32_i8 v[92:95], a[126:127], a[54:55], v[92:95]// 00000000A534: D3D7005C 1D726D7E
	v_mfma_i32_16x16x32_i8 v[72:75], a[112:113], a[56:57], v[72:75]// 00000000A53C: D3D70048 1D227170
	buffer_load_dwordx4 a[104:107], v67, s[24:27], 0 offen     // 00000000A544: E05C1000 80866843
	v_mfma_i32_16x16x32_i8 v[72:75], a[114:115], a[58:59], v[72:75]// 00000000A54C: D3D70048 1D227572
	v_mfma_i32_16x16x32_i8 v[72:75], a[116:117], a[60:61], v[72:75]// 00000000A554: D3D70048 1D227974
	v_mfma_i32_16x16x32_i8 v[72:75], a[118:119], a[62:63], v[72:75]// 00000000A55C: D3D70048 1D227D76
	v_mfma_i32_16x16x32_i8 v[96:99], a[120:121], a[56:57], v[96:99]// 00000000A564: D3D70060 1D827178
	buffer_load_dwordx4 a[108:111], v67, s[24:27], 0 offen offset:1024// 00000000A56C: E05C1400 80866C43
	buffer_load_dword v54, s[20:23], 0 offen lds               // 00000000A574: E0511000 80050036
	s_add_u32 m0, 0x100, s49                                   // 00000000A57C: 807C31FF 00000100
	v_mfma_i32_16x16x32_i8 v[96:99], a[122:123], a[58:59], v[96:99]// 00000000A584: D3D70060 1D82757A
	v_mfma_i32_16x16x32_i8 v[96:99], a[124:125], a[60:61], v[96:99]// 00000000A58C: D3D70060 1D82797C
	buffer_load_dword v55, s[20:23], 0 offen lds               // 00000000A594: E0511000 80050037
	s_add_u32 m0, 0x200, s49                                   // 00000000A59C: 807C31FF 00000200
	v_mfma_i32_16x16x32_i8 v[96:99], a[126:127], a[62:63], v[96:99]// 00000000A5A4: D3D70060 1D827D7E
	v_mfma_i32_16x16x32_i8 v[76:79], a[112:113], a[64:65], v[76:79]// 00000000A5AC: D3D7004C 1D328170
	buffer_load_dword v56, s[20:23], 0 offen lds               // 00000000A5B4: E0511000 80050038
	s_add_u32 m0, 0x300, s49                                   // 00000000A5BC: 807C31FF 00000300
	v_mfma_i32_16x16x32_i8 v[76:79], a[114:115], a[66:67], v[76:79]// 00000000A5C4: D3D7004C 1D328572
	v_mfma_i32_16x16x32_i8 v[76:79], a[116:117], a[68:69], v[76:79]// 00000000A5CC: D3D7004C 1D328974
	buffer_load_dword v57, s[20:23], 0 offen lds               // 00000000A5D4: E0511000 80050039
	s_add_u32 m0, 0x400, s49                                   // 00000000A5DC: 807C31FF 00000400
	v_mfma_i32_16x16x32_i8 v[76:79], a[118:119], a[70:71], v[76:79]// 00000000A5E4: D3D7004C 1D328D76
	v_mfma_i32_16x16x32_i8 v[100:103], a[120:121], a[64:65], v[100:103]// 00000000A5EC: D3D70064 1D928178
	buffer_load_dword v58, s[20:23], 0 offen lds               // 00000000A5F4: E0511000 8005003A
	s_add_u32 m0, 0x500, s49                                   // 00000000A5FC: 807C31FF 00000500
	v_mfma_i32_16x16x32_i8 v[100:103], a[122:123], a[66:67], v[100:103]// 00000000A604: D3D70064 1D92857A
	v_mfma_i32_16x16x32_i8 v[100:103], a[124:125], a[68:69], v[100:103]// 00000000A60C: D3D70064 1D92897C
	buffer_load_dword v59, s[20:23], 0 offen lds               // 00000000A614: E0511000 8005003B
	s_add_u32 m0, 0x600, s49                                   // 00000000A61C: 807C31FF 00000600
	v_mfma_i32_16x16x32_i8 v[100:103], a[126:127], a[70:71], v[100:103]// 00000000A624: D3D70064 1D928D7E
	v_mfma_i32_16x16x32_i8 v[80:83], a[112:113], a[72:73], v[80:83]// 00000000A62C: D3D70050 1D429170
	buffer_load_dword v60, s[20:23], 0 offen lds               // 00000000A634: E0511000 8005003C
	s_add_u32 m0, 0x700, s49                                   // 00000000A63C: 807C31FF 00000700
	v_mfma_i32_16x16x32_i8 v[80:83], a[114:115], a[74:75], v[80:83]// 00000000A644: D3D70050 1D429572
	v_mfma_i32_16x16x32_i8 v[80:83], a[116:117], a[76:77], v[80:83]// 00000000A64C: D3D70050 1D429974
	buffer_load_dword v61, s[20:23], 0 offen lds               // 00000000A654: E0511000 8005003D
	s_add_u32 m0, 0x800, s49                                   // 00000000A65C: 807C31FF 00000800
	v_mfma_i32_16x16x32_i8 v[80:83], a[118:119], a[78:79], v[80:83]// 00000000A664: D3D70050 1D429D76
	v_mfma_i32_16x16x32_i8 v[104:107], a[120:121], a[72:73], v[104:107]// 00000000A66C: D3D70068 1DA29178
	buffer_load_dword v62, s[20:23], 0 offen lds               // 00000000A674: E0511000 8005003E
	s_add_u32 m0, 0x900, s49                                   // 00000000A67C: 807C31FF 00000900
	v_mfma_i32_16x16x32_i8 v[104:107], a[122:123], a[74:75], v[104:107]// 00000000A684: D3D70068 1DA2957A
	v_mfma_i32_16x16x32_i8 v[104:107], a[124:125], a[76:77], v[104:107]// 00000000A68C: D3D70068 1DA2997C
	buffer_load_dword v63, s[20:23], 0 offen lds               // 00000000A694: E0511000 8005003F
	s_add_u32 m0, 0xa00, s49                                   // 00000000A69C: 807C31FF 00000A00
	v_mfma_i32_16x16x32_i8 v[104:107], a[126:127], a[78:79], v[104:107]// 00000000A6A4: D3D70068 1DA29D7E
	v_mfma_i32_16x16x32_i8 v[84:87], a[112:113], a[80:81], v[84:87]// 00000000A6AC: D3D70054 1D52A170
	buffer_load_dword v64, s[20:23], 0 offen lds               // 00000000A6B4: E0511000 80050040
	s_add_u32 m0, 0xb00, s49                                   // 00000000A6BC: 807C31FF 00000B00
	v_mfma_i32_16x16x32_i8 v[84:87], a[114:115], a[82:83], v[84:87]// 00000000A6C4: D3D70054 1D52A572
	v_mfma_i32_16x16x32_i8 v[84:87], a[116:117], a[84:85], v[84:87]// 00000000A6CC: D3D70054 1D52A974
	buffer_load_dword v65, s[20:23], 0 offen lds               // 00000000A6D4: E0511000 80050041
	s_add_u32 m0, 0, s50                                       // 00000000A6DC: 807C3280
	v_mfma_i32_16x16x32_i8 v[84:87], a[118:119], a[86:87], v[84:87]// 00000000A6E0: D3D70054 1D52AD76
	v_mfma_i32_16x16x32_i8 v[108:111], a[120:121], a[80:81], v[108:111]// 00000000A6E8: D3D7006C 1DB2A178
	v_mfma_i32_16x16x32_i8 v[108:111], a[122:123], a[82:83], v[108:111]// 00000000A6F0: D3D7006C 1DB2A57A
	v_mfma_i32_16x16x32_i8 v[108:111], a[124:125], a[84:85], v[108:111]// 00000000A6F8: D3D7006C 1DB2A97C
	v_mfma_i32_16x16x32_i8 v[108:111], a[126:127], a[86:87], v[108:111]// 00000000A700: D3D7006C 1DB2AD7E
	v_mfma_i32_16x16x32_i8 v[88:91], a[112:113], a[88:89], v[88:91]// 00000000A708: D3D70058 1D62B170
	v_mfma_i32_16x16x32_i8 v[88:91], a[114:115], a[90:91], v[88:91]// 00000000A710: D3D70058 1D62B572
	v_mfma_i32_16x16x32_i8 v[88:91], a[116:117], a[92:93], v[88:91]// 00000000A718: D3D70058 1D62B974
	v_mfma_i32_16x16x32_i8 v[88:91], a[118:119], a[94:95], v[88:91]// 00000000A720: D3D70058 1D62BD76
	v_mfma_i32_16x16x32_i8 v[112:115], a[120:121], a[88:89], v[112:115]// 00000000A728: D3D70070 1DC2B178
	v_mfma_i32_16x16x32_i8 v[112:115], a[122:123], a[90:91], v[112:115]// 00000000A730: D3D70070 1DC2B57A
	v_mfma_i32_16x16x32_i8 v[112:115], a[124:125], a[92:93], v[112:115]// 00000000A738: D3D70070 1DC2B97C
	v_mfma_i32_16x16x32_i8 v[112:115], a[126:127], a[94:95], v[112:115]// 00000000A740: D3D70070 1DC2BD7E
	s_waitcnt vmcnt(16)                                        // 00000000A748: BF8C4F70
	s_barrier                                                  // 00000000A74C: BF8A0000
	v_mfma_i32_16x16x32_i8 v[116:119], a[128:129], a[48:49], v[116:119]// 00000000A750: D3D70074 1DD26180
	buffer_load_dwordx4 a[112:115], v66, s[84:87], 0 offen     // 00000000A758: E05C1000 80957042
	v_mfma_i32_16x16x32_i8 v[116:119], a[130:131], a[50:51], v[116:119]// 00000000A760: D3D70074 1DD26582
	v_mfma_i32_16x16x32_i8 v[116:119], a[132:133], a[52:53], v[116:119]// 00000000A768: D3D70074 1DD26984
	ds_read_b128 a[0:3], v2                                    // 00000000A770: DBFE0000 00000002
	ds_read_b128 a[4:7], v2 offset:64                          // 00000000A778: DBFE0040 04000002
	v_mfma_i32_16x16x32_i8 v[116:119], a[134:135], a[54:55], v[116:119]// 00000000A780: D3D70074 1DD26D86
	v_mfma_i32_16x16x32_i8 v[140:143], a[136:137], a[48:49], v[140:143]// 00000000A788: D3D7008C 1E326188
	buffer_load_dwordx4 a[116:119], v66, s[84:87], 0 offen offset:1024// 00000000A790: E05C1400 80957442
	v_mfma_i32_16x16x32_i8 v[140:143], a[138:139], a[50:51], v[140:143]// 00000000A798: D3D7008C 1E32658A
	v_mfma_i32_16x16x32_i8 v[140:143], a[140:141], a[52:53], v[140:143]// 00000000A7A0: D3D7008C 1E32698C
	ds_read_b128 a[8:11], v2 offset:512                        // 00000000A7A8: DBFE0200 08000002
	ds_read_b128 a[12:15], v2 offset:576                       // 00000000A7B0: DBFE0240 0C000002
	v_mfma_i32_16x16x32_i8 v[140:143], a[142:143], a[54:55], v[140:143]// 00000000A7B8: D3D7008C 1E326D8E
	v_mfma_i32_16x16x32_i8 v[120:123], a[128:129], a[56:57], v[120:123]// 00000000A7C0: D3D70078 1DE27180
	buffer_load_dwordx4 a[120:123], v67, s[84:87], 0 offen     // 00000000A7C8: E05C1000 80957843
	v_mfma_i32_16x16x32_i8 v[120:123], a[130:131], a[58:59], v[120:123]// 00000000A7D0: D3D70078 1DE27582
	v_mfma_i32_16x16x32_i8 v[120:123], a[132:133], a[60:61], v[120:123]// 00000000A7D8: D3D70078 1DE27984
	ds_read_b128 a[16:19], v2 offset:1024                      // 00000000A7E0: DBFE0400 10000002
	ds_read_b128 a[20:23], v2 offset:1088                      // 00000000A7E8: DBFE0440 14000002
	v_mfma_i32_16x16x32_i8 v[120:123], a[134:135], a[62:63], v[120:123]// 00000000A7F0: D3D70078 1DE27D86
	v_mfma_i32_16x16x32_i8 v[144:147], a[136:137], a[56:57], v[144:147]// 00000000A7F8: D3D70090 1E427188
	buffer_load_dwordx4 a[124:127], v67, s[84:87], 0 offen offset:1024// 00000000A800: E05C1400 80957C43
	v_mfma_i32_16x16x32_i8 v[144:147], a[138:139], a[58:59], v[144:147]// 00000000A808: D3D70090 1E42758A
	v_mfma_i32_16x16x32_i8 v[144:147], a[140:141], a[60:61], v[144:147]// 00000000A810: D3D70090 1E42798C
	ds_read_b128 a[24:27], v2 offset:1536                      // 00000000A818: DBFE0600 18000002
	ds_read_b128 a[28:31], v2 offset:1600                      // 00000000A820: DBFE0640 1C000002
	v_mfma_i32_16x16x32_i8 v[144:147], a[142:143], a[62:63], v[144:147]// 00000000A828: D3D70090 1E427D8E
	v_mfma_i32_16x16x32_i8 v[124:127], a[128:129], a[64:65], v[124:127]// 00000000A830: D3D7007C 1DF28180
	v_mfma_i32_16x16x32_i8 v[124:127], a[130:131], a[66:67], v[124:127]// 00000000A838: D3D7007C 1DF28582
	v_mfma_i32_16x16x32_i8 v[124:127], a[132:133], a[68:69], v[124:127]// 00000000A840: D3D7007C 1DF28984
	ds_read_b128 a[32:35], v2 offset:2048                      // 00000000A848: DBFE0800 20000002
	ds_read_b128 a[36:39], v2 offset:2112                      // 00000000A850: DBFE0840 24000002
	v_mfma_i32_16x16x32_i8 v[124:127], a[134:135], a[70:71], v[124:127]// 00000000A858: D3D7007C 1DF28D86
	v_mfma_i32_16x16x32_i8 v[148:151], a[136:137], a[64:65], v[148:151]// 00000000A860: D3D70094 1E528188
	v_mfma_i32_16x16x32_i8 v[148:151], a[138:139], a[66:67], v[148:151]// 00000000A868: D3D70094 1E52858A
	v_mfma_i32_16x16x32_i8 v[148:151], a[140:141], a[68:69], v[148:151]// 00000000A870: D3D70094 1E52898C
	ds_read_b128 a[40:43], v2 offset:2560                      // 00000000A878: DBFE0A00 28000002
	ds_read_b128 a[44:47], v2 offset:2624                      // 00000000A880: DBFE0A40 2C000002
	v_mfma_i32_16x16x32_i8 v[148:151], a[142:143], a[70:71], v[148:151]// 00000000A888: D3D70094 1E528D8E
	v_mfma_i32_16x16x32_i8 v[128:131], a[128:129], a[72:73], v[128:131]// 00000000A890: D3D70080 1E029180
	v_mfma_i32_16x16x32_i8 v[128:131], a[130:131], a[74:75], v[128:131]// 00000000A898: D3D70080 1E029582
	v_mfma_i32_16x16x32_i8 v[128:131], a[132:133], a[76:77], v[128:131]// 00000000A8A0: D3D70080 1E029984
	v_mfma_i32_16x16x32_i8 v[128:131], a[134:135], a[78:79], v[128:131]// 00000000A8A8: D3D70080 1E029D86
	v_mfma_i32_16x16x32_i8 v[152:155], a[136:137], a[72:73], v[152:155]// 00000000A8B0: D3D70098 1E629188
	v_mfma_i32_16x16x32_i8 v[152:155], a[138:139], a[74:75], v[152:155]// 00000000A8B8: D3D70098 1E62958A
	v_mfma_i32_16x16x32_i8 v[152:155], a[140:141], a[76:77], v[152:155]// 00000000A8C0: D3D70098 1E62998C
	v_mfma_i32_16x16x32_i8 v[152:155], a[142:143], a[78:79], v[152:155]// 00000000A8C8: D3D70098 1E629D8E
	v_mfma_i32_16x16x32_i8 v[132:135], a[128:129], a[80:81], v[132:135]// 00000000A8D0: D3D70084 1E12A180
	v_mfma_i32_16x16x32_i8 v[132:135], a[130:131], a[82:83], v[132:135]// 00000000A8D8: D3D70084 1E12A582
	v_mfma_i32_16x16x32_i8 v[132:135], a[132:133], a[84:85], v[132:135]// 00000000A8E0: D3D70084 1E12A984
	v_mfma_i32_16x16x32_i8 v[132:135], a[134:135], a[86:87], v[132:135]// 00000000A8E8: D3D70084 1E12AD86
	v_mfma_i32_16x16x32_i8 v[156:159], a[136:137], a[80:81], v[156:159]// 00000000A8F0: D3D7009C 1E72A188
	v_mfma_i32_16x16x32_i8 v[156:159], a[138:139], a[82:83], v[156:159]// 00000000A8F8: D3D7009C 1E72A58A
	v_mfma_i32_16x16x32_i8 v[156:159], a[140:141], a[84:85], v[156:159]// 00000000A900: D3D7009C 1E72A98C
	v_mfma_i32_16x16x32_i8 v[156:159], a[142:143], a[86:87], v[156:159]// 00000000A908: D3D7009C 1E72AD8E
	v_mfma_i32_16x16x32_i8 v[136:139], a[128:129], a[88:89], v[136:139]// 00000000A910: D3D70088 1E22B180
	s_add_u32 s60, 0x180, s80                                  // 00000000A918: 803C50FF 00000180
	s_cmp_lt_u32 s60, s81                                      // 00000000A920: BF0A513C
	s_cselect_b32 s57, s57, 0                                  // 00000000A924: 85398039
	v_mfma_i32_16x16x32_i8 v[136:139], a[130:131], a[90:91], v[136:139]// 00000000A928: D3D70088 1E22B582
	s_add_u32 s60, 0x100, s80                                  // 00000000A930: 803C50FF 00000100
	s_cmp_lt_u32 s60, s81                                      // 00000000A938: BF0A513C
	s_cselect_b32 s58, s58, 0                                  // 00000000A93C: 853A803A
	v_mfma_i32_16x16x32_i8 v[136:139], a[132:133], a[92:93], v[136:139]// 00000000A940: D3D70088 1E22B984
	s_add_u32 s60, 0x100, s80                                  // 00000000A948: 803C50FF 00000100
	s_cmp_lt_u32 s60, s81                                      // 00000000A950: BF0A513C
	s_cselect_b32 s83, s83, 0                                  // 00000000A954: 85538053
	v_mfma_i32_16x16x32_i8 v[136:139], a[134:135], a[94:95], v[136:139]// 00000000A958: D3D70088 1E22BD86
	s_add_u32 s24, s58, s24                                    // 00000000A960: 8018183A
	s_addc_u32 s25, 0, s25                                     // 00000000A964: 82191980
	v_mfma_i32_16x16x32_i8 v[160:163], a[136:137], a[88:89], v[160:163]// 00000000A968: D3D700A0 1E82B188
	s_add_u32 s20, s57, s20                                    // 00000000A970: 80141439
	s_addc_u32 s21, 0, s21                                     // 00000000A974: 82151580
	v_mfma_i32_16x16x32_i8 v[160:163], a[138:139], a[90:91], v[160:163]// 00000000A978: D3D700A0 1E82B58A
	s_add_u32 s84, s83, s84                                    // 00000000A980: 80545453
	s_addc_u32 s85, 0, s85                                     // 00000000A984: 82555580
	v_mfma_i32_16x16x32_i8 v[160:163], a[140:141], a[92:93], v[160:163]// 00000000A988: D3D700A0 1E82B98C
	v_mfma_i32_16x16x32_i8 v[160:163], a[142:143], a[94:95], v[160:163]// 00000000A990: D3D700A0 1E82BD8E
	s_addk_i32 s80, 0x80                                       // 00000000A998: B7500080
	s_cmp_lt_i32 s80, s81                                      // 00000000A99C: BF045150
	s_cbranch_scc0 label_1FED                                  // 00000000A9A0: BF840001
	s_branch label_18D2                                        // 00000000A9A4: BF82F8E5

000000000000a9a8 <label_1FED>:
	v_cvt_f32_i32_e32 v68, v68                                 // 00000000A9A8: 7E880B44
	v_cvt_f32_i32_e32 v69, v69                                 // 00000000A9AC: 7E8A0B45
	v_cvt_f32_i32_e32 v70, v70                                 // 00000000A9B0: 7E8C0B46
	v_cvt_f32_i32_e32 v71, v71                                 // 00000000A9B4: 7E8E0B47
	v_mul_f32_dpp v68, v24, v68 row_newbcast:0 row_mask:0xf bank_mask:0xf// 00000000A9B8: 0A8888FA FF015018
	v_mul_f32_dpp v69, v24, v69 row_newbcast:1 row_mask:0xf bank_mask:0xf// 00000000A9C0: 0A8A8AFA FF015118
	v_mul_f32_dpp v70, v24, v70 row_newbcast:2 row_mask:0xf bank_mask:0xf// 00000000A9C8: 0A8C8CFA FF015218
	v_mul_f32_dpp v71, v24, v71 row_newbcast:3 row_mask:0xf bank_mask:0xf// 00000000A9D0: 0A8E8EFA FF015318
	v_cvt_f32_i32_e32 v72, v72                                 // 00000000A9D8: 7E900B48
	v_cvt_f32_i32_e32 v73, v73                                 // 00000000A9DC: 7E920B49
	v_cvt_f32_i32_e32 v74, v74                                 // 00000000A9E0: 7E940B4A
	v_cvt_f32_i32_e32 v75, v75                                 // 00000000A9E4: 7E960B4B
	v_mul_f32_dpp v72, v24, v72 row_newbcast:0 row_mask:0xf bank_mask:0xf// 00000000A9E8: 0A9090FA FF015018
	v_mul_f32_dpp v73, v24, v73 row_newbcast:1 row_mask:0xf bank_mask:0xf// 00000000A9F0: 0A9292FA FF015118
	v_mul_f32_dpp v74, v24, v74 row_newbcast:2 row_mask:0xf bank_mask:0xf// 00000000A9F8: 0A9494FA FF015218
	v_mul_f32_dpp v75, v24, v75 row_newbcast:3 row_mask:0xf bank_mask:0xf// 00000000AA00: 0A9696FA FF015318
	v_cvt_f32_i32_e32 v76, v76                                 // 00000000AA08: 7E980B4C
	v_cvt_f32_i32_e32 v77, v77                                 // 00000000AA0C: 7E9A0B4D
	v_cvt_f32_i32_e32 v78, v78                                 // 00000000AA10: 7E9C0B4E
	v_cvt_f32_i32_e32 v79, v79                                 // 00000000AA14: 7E9E0B4F
	v_mul_f32_dpp v76, v24, v76 row_newbcast:0 row_mask:0xf bank_mask:0xf// 00000000AA18: 0A9898FA FF015018
	v_mul_f32_dpp v77, v24, v77 row_newbcast:1 row_mask:0xf bank_mask:0xf// 00000000AA20: 0A9A9AFA FF015118
	v_mul_f32_dpp v78, v24, v78 row_newbcast:2 row_mask:0xf bank_mask:0xf// 00000000AA28: 0A9C9CFA FF015218
	v_mul_f32_dpp v79, v24, v79 row_newbcast:3 row_mask:0xf bank_mask:0xf// 00000000AA30: 0A9E9EFA FF015318
	v_cvt_f32_i32_e32 v80, v80                                 // 00000000AA38: 7EA00B50
	v_cvt_f32_i32_e32 v81, v81                                 // 00000000AA3C: 7EA20B51
	v_cvt_f32_i32_e32 v82, v82                                 // 00000000AA40: 7EA40B52
	v_cvt_f32_i32_e32 v83, v83                                 // 00000000AA44: 7EA60B53
	v_mul_f32_dpp v80, v24, v80 row_newbcast:0 row_mask:0xf bank_mask:0xf// 00000000AA48: 0AA0A0FA FF015018
	v_mul_f32_dpp v81, v24, v81 row_newbcast:1 row_mask:0xf bank_mask:0xf// 00000000AA50: 0AA2A2FA FF015118
	v_mul_f32_dpp v82, v24, v82 row_newbcast:2 row_mask:0xf bank_mask:0xf// 00000000AA58: 0AA4A4FA FF015218
	v_mul_f32_dpp v83, v24, v83 row_newbcast:3 row_mask:0xf bank_mask:0xf// 00000000AA60: 0AA6A6FA FF015318
	v_cvt_f32_i32_e32 v84, v84                                 // 00000000AA68: 7EA80B54
	v_cvt_f32_i32_e32 v85, v85                                 // 00000000AA6C: 7EAA0B55
	v_cvt_f32_i32_e32 v86, v86                                 // 00000000AA70: 7EAC0B56
	v_cvt_f32_i32_e32 v87, v87                                 // 00000000AA74: 7EAE0B57
	v_mul_f32_dpp v84, v24, v84 row_newbcast:0 row_mask:0xf bank_mask:0xf// 00000000AA78: 0AA8A8FA FF015018
	v_mul_f32_dpp v85, v24, v85 row_newbcast:1 row_mask:0xf bank_mask:0xf// 00000000AA80: 0AAAAAFA FF015118
	v_mul_f32_dpp v86, v24, v86 row_newbcast:2 row_mask:0xf bank_mask:0xf// 00000000AA88: 0AACACFA FF015218
	v_mul_f32_dpp v87, v24, v87 row_newbcast:3 row_mask:0xf bank_mask:0xf// 00000000AA90: 0AAEAEFA FF015318
	v_cvt_f32_i32_e32 v88, v88                                 // 00000000AA98: 7EB00B58
	v_cvt_f32_i32_e32 v89, v89                                 // 00000000AA9C: 7EB20B59
	v_cvt_f32_i32_e32 v90, v90                                 // 00000000AAA0: 7EB40B5A
	v_cvt_f32_i32_e32 v91, v91                                 // 00000000AAA4: 7EB60B5B
	v_mul_f32_dpp v88, v24, v88 row_newbcast:0 row_mask:0xf bank_mask:0xf// 00000000AAA8: 0AB0B0FA FF015018
	v_mul_f32_dpp v89, v24, v89 row_newbcast:1 row_mask:0xf bank_mask:0xf// 00000000AAB0: 0AB2B2FA FF015118
	v_mul_f32_dpp v90, v24, v90 row_newbcast:2 row_mask:0xf bank_mask:0xf// 00000000AAB8: 0AB4B4FA FF015218
	v_mul_f32_dpp v91, v24, v91 row_newbcast:3 row_mask:0xf bank_mask:0xf// 00000000AAC0: 0AB6B6FA FF015318
	v_cvt_f32_i32_e32 v92, v92                                 // 00000000AAC8: 7EB80B5C
	v_cvt_f32_i32_e32 v93, v93                                 // 00000000AACC: 7EBA0B5D
	v_cvt_f32_i32_e32 v94, v94                                 // 00000000AAD0: 7EBC0B5E
	v_cvt_f32_i32_e32 v95, v95                                 // 00000000AAD4: 7EBE0B5F
	v_mul_f32_dpp v92, v24, v92 row_newbcast:4 row_mask:0xf bank_mask:0xf// 00000000AAD8: 0AB8B8FA FF015418
	v_mul_f32_dpp v93, v24, v93 row_newbcast:5 row_mask:0xf bank_mask:0xf// 00000000AAE0: 0ABABAFA FF015518
	v_mul_f32_dpp v94, v24, v94 row_newbcast:6 row_mask:0xf bank_mask:0xf// 00000000AAE8: 0ABCBCFA FF015618
	v_mul_f32_dpp v95, v24, v95 row_newbcast:7 row_mask:0xf bank_mask:0xf// 00000000AAF0: 0ABEBEFA FF015718
	v_cvt_f32_i32_e32 v96, v96                                 // 00000000AAF8: 7EC00B60
	v_cvt_f32_i32_e32 v97, v97                                 // 00000000AAFC: 7EC20B61
	v_cvt_f32_i32_e32 v98, v98                                 // 00000000AB00: 7EC40B62
	v_cvt_f32_i32_e32 v99, v99                                 // 00000000AB04: 7EC60B63
	v_mul_f32_dpp v96, v24, v96 row_newbcast:4 row_mask:0xf bank_mask:0xf// 00000000AB08: 0AC0C0FA FF015418
	v_mul_f32_dpp v97, v24, v97 row_newbcast:5 row_mask:0xf bank_mask:0xf// 00000000AB10: 0AC2C2FA FF015518
	v_mul_f32_dpp v98, v24, v98 row_newbcast:6 row_mask:0xf bank_mask:0xf// 00000000AB18: 0AC4C4FA FF015618
	v_mul_f32_dpp v99, v24, v99 row_newbcast:7 row_mask:0xf bank_mask:0xf// 00000000AB20: 0AC6C6FA FF015718
	v_cvt_f32_i32_e32 v100, v100                               // 00000000AB28: 7EC80B64
	v_cvt_f32_i32_e32 v101, v101                               // 00000000AB2C: 7ECA0B65
	v_cvt_f32_i32_e32 v102, v102                               // 00000000AB30: 7ECC0B66
	v_cvt_f32_i32_e32 v103, v103                               // 00000000AB34: 7ECE0B67
	v_mul_f32_dpp v100, v24, v100 row_newbcast:4 row_mask:0xf bank_mask:0xf// 00000000AB38: 0AC8C8FA FF015418
	v_mul_f32_dpp v101, v24, v101 row_newbcast:5 row_mask:0xf bank_mask:0xf// 00000000AB40: 0ACACAFA FF015518
	v_mul_f32_dpp v102, v24, v102 row_newbcast:6 row_mask:0xf bank_mask:0xf// 00000000AB48: 0ACCCCFA FF015618
	v_mul_f32_dpp v103, v24, v103 row_newbcast:7 row_mask:0xf bank_mask:0xf// 00000000AB50: 0ACECEFA FF015718
	v_cvt_f32_i32_e32 v104, v104                               // 00000000AB58: 7ED00B68
	v_cvt_f32_i32_e32 v105, v105                               // 00000000AB5C: 7ED20B69
	v_cvt_f32_i32_e32 v106, v106                               // 00000000AB60: 7ED40B6A
	v_cvt_f32_i32_e32 v107, v107                               // 00000000AB64: 7ED60B6B
	v_mul_f32_dpp v104, v24, v104 row_newbcast:4 row_mask:0xf bank_mask:0xf// 00000000AB68: 0AD0D0FA FF015418
	v_mul_f32_dpp v105, v24, v105 row_newbcast:5 row_mask:0xf bank_mask:0xf// 00000000AB70: 0AD2D2FA FF015518
	v_mul_f32_dpp v106, v24, v106 row_newbcast:6 row_mask:0xf bank_mask:0xf// 00000000AB78: 0AD4D4FA FF015618
	v_mul_f32_dpp v107, v24, v107 row_newbcast:7 row_mask:0xf bank_mask:0xf// 00000000AB80: 0AD6D6FA FF015718
	v_cvt_f32_i32_e32 v108, v108                               // 00000000AB88: 7ED80B6C
	v_cvt_f32_i32_e32 v109, v109                               // 00000000AB8C: 7EDA0B6D
	v_cvt_f32_i32_e32 v110, v110                               // 00000000AB90: 7EDC0B6E
	v_cvt_f32_i32_e32 v111, v111                               // 00000000AB94: 7EDE0B6F
	v_mul_f32_dpp v108, v24, v108 row_newbcast:4 row_mask:0xf bank_mask:0xf// 00000000AB98: 0AD8D8FA FF015418
	v_mul_f32_dpp v109, v24, v109 row_newbcast:5 row_mask:0xf bank_mask:0xf// 00000000ABA0: 0ADADAFA FF015518
	v_mul_f32_dpp v110, v24, v110 row_newbcast:6 row_mask:0xf bank_mask:0xf// 00000000ABA8: 0ADCDCFA FF015618
	v_mul_f32_dpp v111, v24, v111 row_newbcast:7 row_mask:0xf bank_mask:0xf// 00000000ABB0: 0ADEDEFA FF015718
	v_cvt_f32_i32_e32 v112, v112                               // 00000000ABB8: 7EE00B70
	v_cvt_f32_i32_e32 v113, v113                               // 00000000ABBC: 7EE20B71
	v_cvt_f32_i32_e32 v114, v114                               // 00000000ABC0: 7EE40B72
	v_cvt_f32_i32_e32 v115, v115                               // 00000000ABC4: 7EE60B73
	v_mul_f32_dpp v112, v24, v112 row_newbcast:4 row_mask:0xf bank_mask:0xf// 00000000ABC8: 0AE0E0FA FF015418
	v_mul_f32_dpp v113, v24, v113 row_newbcast:5 row_mask:0xf bank_mask:0xf// 00000000ABD0: 0AE2E2FA FF015518
	v_mul_f32_dpp v114, v24, v114 row_newbcast:6 row_mask:0xf bank_mask:0xf// 00000000ABD8: 0AE4E4FA FF015618
	v_mul_f32_dpp v115, v24, v115 row_newbcast:7 row_mask:0xf bank_mask:0xf// 00000000ABE0: 0AE6E6FA FF015718
	v_cvt_f32_i32_e32 v116, v116                               // 00000000ABE8: 7EE80B74
	v_cvt_f32_i32_e32 v117, v117                               // 00000000ABEC: 7EEA0B75
	v_cvt_f32_i32_e32 v118, v118                               // 00000000ABF0: 7EEC0B76
	v_cvt_f32_i32_e32 v119, v119                               // 00000000ABF4: 7EEE0B77
	v_mul_f32_dpp v116, v27, v116 row_newbcast:0 row_mask:0xf bank_mask:0xf// 00000000ABF8: 0AE8E8FA FF01501B
	v_mul_f32_dpp v117, v27, v117 row_newbcast:1 row_mask:0xf bank_mask:0xf// 00000000AC00: 0AEAEAFA FF01511B
	v_mul_f32_dpp v118, v27, v118 row_newbcast:2 row_mask:0xf bank_mask:0xf// 00000000AC08: 0AECECFA FF01521B
	v_mul_f32_dpp v119, v27, v119 row_newbcast:3 row_mask:0xf bank_mask:0xf// 00000000AC10: 0AEEEEFA FF01531B
	v_cvt_f32_i32_e32 v120, v120                               // 00000000AC18: 7EF00B78
	v_cvt_f32_i32_e32 v121, v121                               // 00000000AC1C: 7EF20B79
	v_cvt_f32_i32_e32 v122, v122                               // 00000000AC20: 7EF40B7A
	v_cvt_f32_i32_e32 v123, v123                               // 00000000AC24: 7EF60B7B
	v_mul_f32_dpp v120, v27, v120 row_newbcast:0 row_mask:0xf bank_mask:0xf// 00000000AC28: 0AF0F0FA FF01501B
	v_mul_f32_dpp v121, v27, v121 row_newbcast:1 row_mask:0xf bank_mask:0xf// 00000000AC30: 0AF2F2FA FF01511B
	v_mul_f32_dpp v122, v27, v122 row_newbcast:2 row_mask:0xf bank_mask:0xf// 00000000AC38: 0AF4F4FA FF01521B
	v_mul_f32_dpp v123, v27, v123 row_newbcast:3 row_mask:0xf bank_mask:0xf// 00000000AC40: 0AF6F6FA FF01531B
	v_cvt_f32_i32_e32 v124, v124                               // 00000000AC48: 7EF80B7C
	v_cvt_f32_i32_e32 v125, v125                               // 00000000AC4C: 7EFA0B7D
	v_cvt_f32_i32_e32 v126, v126                               // 00000000AC50: 7EFC0B7E
	v_cvt_f32_i32_e32 v127, v127                               // 00000000AC54: 7EFE0B7F
	v_mul_f32_dpp v124, v27, v124 row_newbcast:0 row_mask:0xf bank_mask:0xf// 00000000AC58: 0AF8F8FA FF01501B
	v_mul_f32_dpp v125, v27, v125 row_newbcast:1 row_mask:0xf bank_mask:0xf// 00000000AC60: 0AFAFAFA FF01511B
	v_mul_f32_dpp v126, v27, v126 row_newbcast:2 row_mask:0xf bank_mask:0xf// 00000000AC68: 0AFCFCFA FF01521B
	v_mul_f32_dpp v127, v27, v127 row_newbcast:3 row_mask:0xf bank_mask:0xf// 00000000AC70: 0AFEFEFA FF01531B
	v_cvt_f32_i32_e32 v128, v128                               // 00000000AC78: 7F000B80
	v_cvt_f32_i32_e32 v129, v129                               // 00000000AC7C: 7F020B81
	v_cvt_f32_i32_e32 v130, v130                               // 00000000AC80: 7F040B82
	v_cvt_f32_i32_e32 v131, v131                               // 00000000AC84: 7F060B83
	v_mul_f32_dpp v128, v27, v128 row_newbcast:0 row_mask:0xf bank_mask:0xf// 00000000AC88: 0B0100FA FF01501B
	v_mul_f32_dpp v129, v27, v129 row_newbcast:1 row_mask:0xf bank_mask:0xf// 00000000AC90: 0B0302FA FF01511B
	v_mul_f32_dpp v130, v27, v130 row_newbcast:2 row_mask:0xf bank_mask:0xf// 00000000AC98: 0B0504FA FF01521B
	v_mul_f32_dpp v131, v27, v131 row_newbcast:3 row_mask:0xf bank_mask:0xf// 00000000ACA0: 0B0706FA FF01531B
	v_cvt_f32_i32_e32 v132, v132                               // 00000000ACA8: 7F080B84
	v_cvt_f32_i32_e32 v133, v133                               // 00000000ACAC: 7F0A0B85
	v_cvt_f32_i32_e32 v134, v134                               // 00000000ACB0: 7F0C0B86
	v_cvt_f32_i32_e32 v135, v135                               // 00000000ACB4: 7F0E0B87
	v_mul_f32_dpp v132, v27, v132 row_newbcast:0 row_mask:0xf bank_mask:0xf// 00000000ACB8: 0B0908FA FF01501B
	v_mul_f32_dpp v133, v27, v133 row_newbcast:1 row_mask:0xf bank_mask:0xf// 00000000ACC0: 0B0B0AFA FF01511B
	v_mul_f32_dpp v134, v27, v134 row_newbcast:2 row_mask:0xf bank_mask:0xf// 00000000ACC8: 0B0D0CFA FF01521B
	v_mul_f32_dpp v135, v27, v135 row_newbcast:3 row_mask:0xf bank_mask:0xf// 00000000ACD0: 0B0F0EFA FF01531B
	v_cvt_f32_i32_e32 v136, v136                               // 00000000ACD8: 7F100B88
	v_cvt_f32_i32_e32 v137, v137                               // 00000000ACDC: 7F120B89
	v_cvt_f32_i32_e32 v138, v138                               // 00000000ACE0: 7F140B8A
	v_cvt_f32_i32_e32 v139, v139                               // 00000000ACE4: 7F160B8B
	v_mul_f32_dpp v136, v27, v136 row_newbcast:0 row_mask:0xf bank_mask:0xf// 00000000ACE8: 0B1110FA FF01501B
	v_mul_f32_dpp v137, v27, v137 row_newbcast:1 row_mask:0xf bank_mask:0xf// 00000000ACF0: 0B1312FA FF01511B
	v_mul_f32_dpp v138, v27, v138 row_newbcast:2 row_mask:0xf bank_mask:0xf// 00000000ACF8: 0B1514FA FF01521B
	v_mul_f32_dpp v139, v27, v139 row_newbcast:3 row_mask:0xf bank_mask:0xf// 00000000AD00: 0B1716FA FF01531B
	v_cvt_f32_i32_e32 v140, v140                               // 00000000AD08: 7F180B8C
	v_cvt_f32_i32_e32 v141, v141                               // 00000000AD0C: 7F1A0B8D
	v_cvt_f32_i32_e32 v142, v142                               // 00000000AD10: 7F1C0B8E
	v_cvt_f32_i32_e32 v143, v143                               // 00000000AD14: 7F1E0B8F
	v_mul_f32_dpp v140, v27, v140 row_newbcast:4 row_mask:0xf bank_mask:0xf// 00000000AD18: 0B1918FA FF01541B
	v_mul_f32_dpp v141, v27, v141 row_newbcast:5 row_mask:0xf bank_mask:0xf// 00000000AD20: 0B1B1AFA FF01551B
	v_mul_f32_dpp v142, v27, v142 row_newbcast:6 row_mask:0xf bank_mask:0xf// 00000000AD28: 0B1D1CFA FF01561B
	v_mul_f32_dpp v143, v27, v143 row_newbcast:7 row_mask:0xf bank_mask:0xf// 00000000AD30: 0B1F1EFA FF01571B
	v_cvt_f32_i32_e32 v144, v144                               // 00000000AD38: 7F200B90
	v_cvt_f32_i32_e32 v145, v145                               // 00000000AD3C: 7F220B91
	v_cvt_f32_i32_e32 v146, v146                               // 00000000AD40: 7F240B92
	v_cvt_f32_i32_e32 v147, v147                               // 00000000AD44: 7F260B93
	v_mul_f32_dpp v144, v27, v144 row_newbcast:4 row_mask:0xf bank_mask:0xf// 00000000AD48: 0B2120FA FF01541B
	v_mul_f32_dpp v145, v27, v145 row_newbcast:5 row_mask:0xf bank_mask:0xf// 00000000AD50: 0B2322FA FF01551B
	v_mul_f32_dpp v146, v27, v146 row_newbcast:6 row_mask:0xf bank_mask:0xf// 00000000AD58: 0B2524FA FF01561B
	v_mul_f32_dpp v147, v27, v147 row_newbcast:7 row_mask:0xf bank_mask:0xf// 00000000AD60: 0B2726FA FF01571B
	v_cvt_f32_i32_e32 v148, v148                               // 00000000AD68: 7F280B94
	v_cvt_f32_i32_e32 v149, v149                               // 00000000AD6C: 7F2A0B95
	v_cvt_f32_i32_e32 v150, v150                               // 00000000AD70: 7F2C0B96
	v_cvt_f32_i32_e32 v151, v151                               // 00000000AD74: 7F2E0B97
	v_mul_f32_dpp v148, v27, v148 row_newbcast:4 row_mask:0xf bank_mask:0xf// 00000000AD78: 0B2928FA FF01541B
	v_mul_f32_dpp v149, v27, v149 row_newbcast:5 row_mask:0xf bank_mask:0xf// 00000000AD80: 0B2B2AFA FF01551B
	v_mul_f32_dpp v150, v27, v150 row_newbcast:6 row_mask:0xf bank_mask:0xf// 00000000AD88: 0B2D2CFA FF01561B
	v_mul_f32_dpp v151, v27, v151 row_newbcast:7 row_mask:0xf bank_mask:0xf// 00000000AD90: 0B2F2EFA FF01571B
	v_cvt_f32_i32_e32 v152, v152                               // 00000000AD98: 7F300B98
	v_cvt_f32_i32_e32 v153, v153                               // 00000000AD9C: 7F320B99
	v_cvt_f32_i32_e32 v154, v154                               // 00000000ADA0: 7F340B9A
	v_cvt_f32_i32_e32 v155, v155                               // 00000000ADA4: 7F360B9B
	v_mul_f32_dpp v152, v27, v152 row_newbcast:4 row_mask:0xf bank_mask:0xf// 00000000ADA8: 0B3130FA FF01541B
	v_mul_f32_dpp v153, v27, v153 row_newbcast:5 row_mask:0xf bank_mask:0xf// 00000000ADB0: 0B3332FA FF01551B
	v_mul_f32_dpp v154, v27, v154 row_newbcast:6 row_mask:0xf bank_mask:0xf// 00000000ADB8: 0B3534FA FF01561B
	v_mul_f32_dpp v155, v27, v155 row_newbcast:7 row_mask:0xf bank_mask:0xf// 00000000ADC0: 0B3736FA FF01571B
	v_cvt_f32_i32_e32 v156, v156                               // 00000000ADC8: 7F380B9C
	v_cvt_f32_i32_e32 v157, v157                               // 00000000ADCC: 7F3A0B9D
	v_cvt_f32_i32_e32 v158, v158                               // 00000000ADD0: 7F3C0B9E
	v_cvt_f32_i32_e32 v159, v159                               // 00000000ADD4: 7F3E0B9F
	v_mul_f32_dpp v156, v27, v156 row_newbcast:4 row_mask:0xf bank_mask:0xf// 00000000ADD8: 0B3938FA FF01541B
	v_mul_f32_dpp v157, v27, v157 row_newbcast:5 row_mask:0xf bank_mask:0xf// 00000000ADE0: 0B3B3AFA FF01551B
	v_mul_f32_dpp v158, v27, v158 row_newbcast:6 row_mask:0xf bank_mask:0xf// 00000000ADE8: 0B3D3CFA FF01561B
	v_mul_f32_dpp v159, v27, v159 row_newbcast:7 row_mask:0xf bank_mask:0xf// 00000000ADF0: 0B3F3EFA FF01571B
	v_cvt_f32_i32_e32 v160, v160                               // 00000000ADF8: 7F400BA0
	v_cvt_f32_i32_e32 v161, v161                               // 00000000ADFC: 7F420BA1
	v_cvt_f32_i32_e32 v162, v162                               // 00000000AE00: 7F440BA2
	v_cvt_f32_i32_e32 v163, v163                               // 00000000AE04: 7F460BA3
	v_mul_f32_dpp v160, v27, v160 row_newbcast:4 row_mask:0xf bank_mask:0xf// 00000000AE08: 0B4140FA FF01541B
	v_mul_f32_dpp v161, v27, v161 row_newbcast:5 row_mask:0xf bank_mask:0xf// 00000000AE10: 0B4342FA FF01551B
	v_mul_f32_dpp v162, v27, v162 row_newbcast:6 row_mask:0xf bank_mask:0xf// 00000000AE18: 0B4544FA FF01561B
	v_mul_f32_dpp v163, v27, v163 row_newbcast:7 row_mask:0xf bank_mask:0xf// 00000000AE20: 0B4746FA FF01571B
	v_mov_b32_e32 v4, v36                                      // 00000000AE28: 7E080324
	v_mov_b32_e32 v5, v4                                       // 00000000AE2C: 7E0A0304
	v_pk_mul_f32 v[68:69], v[4:5], v[68:69]                    // 00000000AE30: D3B14044 18028904
	v_pk_mul_f32 v[116:117], v[4:5], v[116:117]                // 00000000AE38: D3B14074 1802E904
	v_pk_mul_f32 v[70:71], v[4:5], v[70:71]                    // 00000000AE40: D3B14046 18028D04
	v_pk_mul_f32 v[118:119], v[4:5], v[118:119]                // 00000000AE48: D3B14076 1802ED04
	v_pk_mul_f32 v[92:93], v[4:5], v[92:93]                    // 00000000AE50: D3B1405C 1802B904
	v_pk_mul_f32 v[140:141], v[4:5], v[140:141]                // 00000000AE58: D3B1408C 18031904
	v_pk_mul_f32 v[94:95], v[4:5], v[94:95]                    // 00000000AE60: D3B1405E 1802BD04
	v_pk_mul_f32 v[142:143], v[4:5], v[142:143]                // 00000000AE68: D3B1408E 18031D04
	v_mov_b32_e32 v4, v37                                      // 00000000AE70: 7E080325
	v_mov_b32_e32 v5, v4                                       // 00000000AE74: 7E0A0304
	v_pk_mul_f32 v[72:73], v[4:5], v[72:73]                    // 00000000AE78: D3B14048 18029104
	v_pk_mul_f32 v[120:121], v[4:5], v[120:121]                // 00000000AE80: D3B14078 1802F104
	v_pk_mul_f32 v[74:75], v[4:5], v[74:75]                    // 00000000AE88: D3B1404A 18029504
	v_pk_mul_f32 v[122:123], v[4:5], v[122:123]                // 00000000AE90: D3B1407A 1802F504
	v_pk_mul_f32 v[96:97], v[4:5], v[96:97]                    // 00000000AE98: D3B14060 1802C104
	v_pk_mul_f32 v[144:145], v[4:5], v[144:145]                // 00000000AEA0: D3B14090 18032104
	v_pk_mul_f32 v[98:99], v[4:5], v[98:99]                    // 00000000AEA8: D3B14062 1802C504
	v_pk_mul_f32 v[146:147], v[4:5], v[146:147]                // 00000000AEB0: D3B14092 18032504
	v_mov_b32_e32 v4, v38                                      // 00000000AEB8: 7E080326
	v_mov_b32_e32 v5, v4                                       // 00000000AEBC: 7E0A0304
	v_pk_mul_f32 v[76:77], v[4:5], v[76:77]                    // 00000000AEC0: D3B1404C 18029904
	v_pk_mul_f32 v[124:125], v[4:5], v[124:125]                // 00000000AEC8: D3B1407C 1802F904
	v_pk_mul_f32 v[78:79], v[4:5], v[78:79]                    // 00000000AED0: D3B1404E 18029D04
	v_pk_mul_f32 v[126:127], v[4:5], v[126:127]                // 00000000AED8: D3B1407E 1802FD04
	v_pk_mul_f32 v[100:101], v[4:5], v[100:101]                // 00000000AEE0: D3B14064 1802C904
	v_pk_mul_f32 v[148:149], v[4:5], v[148:149]                // 00000000AEE8: D3B14094 18032904
	v_pk_mul_f32 v[102:103], v[4:5], v[102:103]                // 00000000AEF0: D3B14066 1802CD04
	v_pk_mul_f32 v[150:151], v[4:5], v[150:151]                // 00000000AEF8: D3B14096 18032D04
	v_mov_b32_e32 v4, v39                                      // 00000000AF00: 7E080327
	v_mov_b32_e32 v5, v4                                       // 00000000AF04: 7E0A0304
	v_pk_mul_f32 v[80:81], v[4:5], v[80:81]                    // 00000000AF08: D3B14050 1802A104
	v_pk_mul_f32 v[128:129], v[4:5], v[128:129]                // 00000000AF10: D3B14080 18030104
	v_pk_mul_f32 v[82:83], v[4:5], v[82:83]                    // 00000000AF18: D3B14052 1802A504
	v_pk_mul_f32 v[130:131], v[4:5], v[130:131]                // 00000000AF20: D3B14082 18030504
	v_pk_mul_f32 v[104:105], v[4:5], v[104:105]                // 00000000AF28: D3B14068 1802D104
	v_pk_mul_f32 v[152:153], v[4:5], v[152:153]                // 00000000AF30: D3B14098 18033104
	v_pk_mul_f32 v[106:107], v[4:5], v[106:107]                // 00000000AF38: D3B1406A 1802D504
	v_pk_mul_f32 v[154:155], v[4:5], v[154:155]                // 00000000AF40: D3B1409A 18033504
	v_mov_b32_e32 v4, v40                                      // 00000000AF48: 7E080328
	v_mov_b32_e32 v5, v4                                       // 00000000AF4C: 7E0A0304
	v_pk_mul_f32 v[84:85], v[4:5], v[84:85]                    // 00000000AF50: D3B14054 1802A904
	v_pk_mul_f32 v[132:133], v[4:5], v[132:133]                // 00000000AF58: D3B14084 18030904
	v_pk_mul_f32 v[86:87], v[4:5], v[86:87]                    // 00000000AF60: D3B14056 1802AD04
	v_pk_mul_f32 v[134:135], v[4:5], v[134:135]                // 00000000AF68: D3B14086 18030D04
	v_pk_mul_f32 v[108:109], v[4:5], v[108:109]                // 00000000AF70: D3B1406C 1802D904
	v_pk_mul_f32 v[156:157], v[4:5], v[156:157]                // 00000000AF78: D3B1409C 18033904
	v_pk_mul_f32 v[110:111], v[4:5], v[110:111]                // 00000000AF80: D3B1406E 1802DD04
	v_pk_mul_f32 v[158:159], v[4:5], v[158:159]                // 00000000AF88: D3B1409E 18033D04
	v_mov_b32_e32 v4, v41                                      // 00000000AF90: 7E080329
	v_mov_b32_e32 v5, v4                                       // 00000000AF94: 7E0A0304
	v_pk_mul_f32 v[88:89], v[4:5], v[88:89]                    // 00000000AF98: D3B14058 1802B104
	v_pk_mul_f32 v[136:137], v[4:5], v[136:137]                // 00000000AFA0: D3B14088 18031104
	v_pk_mul_f32 v[90:91], v[4:5], v[90:91]                    // 00000000AFA8: D3B1405A 1802B504
	v_pk_mul_f32 v[138:139], v[4:5], v[138:139]                // 00000000AFB0: D3B1408A 18031504
	v_pk_mul_f32 v[112:113], v[4:5], v[112:113]                // 00000000AFB8: D3B14070 1802E104
	v_pk_mul_f32 v[160:161], v[4:5], v[160:161]                // 00000000AFC0: D3B140A0 18034104
	v_pk_mul_f32 v[114:115], v[4:5], v[114:115]                // 00000000AFC8: D3B14072 1802E504
	v_pk_mul_f32 v[162:163], v[4:5], v[162:163]                // 00000000AFD0: D3B140A2 18034504
	s_cmp_eq_u32 s88, 0                                        // 00000000AFD8: BF068058
	s_cbranch_scc0 label_288C                                  // 00000000AFDC: BF840711
	s_cmp_eq_u32 s89, 0                                        // 00000000AFE0: BF068059
	s_cbranch_scc1 label_2362                                  // 00000000AFE4: BF8501E5
	v_mov_b32_e32 v8, v1                                       // 00000000AFE8: 7E100301
	v_mov_b32_e32 v9, v1                                       // 00000000AFEC: 7E120301
	s_mov_b32 s60, s6                                          // 00000000AFF0: BEBC0006
	s_mov_b32 s61, s6                                          // 00000000AFF4: BEBD0006
	v_pk_mul_f32 v[4:5], v[68:69], v[68:69]                    // 00000000AFF8: D3B14004 18028944
	v_pk_mul_f32 v[6:7], v[70:71], v[70:71]                    // 00000000B000: D3B14006 18028D46
	v_pk_fma_f32 v[4:5], v[4:5], s[78:79], v[8:9]              // 00000000B008: D3B04004 1C209D04
	v_pk_fma_f32 v[6:7], v[6:7], s[78:79], v[8:9]              // 00000000B010: D3B04006 1C209D06
	v_pk_mul_f32 v[4:5], v[4:5], v[68:69]                      // 00000000B018: D3B14004 18028904
	v_pk_mul_f32 v[6:7], v[6:7], v[70:71]                      // 00000000B020: D3B14006 18028D06
	v_pk_mul_f32 v[4:5], v[4:5], s[60:61]                      // 00000000B028: D3B14004 18007904
	v_pk_mul_f32 v[6:7], v[6:7], s[60:61]                      // 00000000B030: D3B14006 18007906
	v_exp_f32_e32 v4, v4                                       // 00000000B038: 7E084104
	v_exp_f32_e32 v5, v5                                       // 00000000B03C: 7E0A4105
	v_exp_f32_e32 v6, v6                                       // 00000000B040: 7E0C4106
	v_exp_f32_e32 v7, v7                                       // 00000000B044: 7E0E4107
	v_add_f32_e64 v4, v4, 1.0                                  // 00000000B048: D1010004 0001E504
	v_add_f32_e64 v5, v5, 1.0                                  // 00000000B050: D1010005 0001E505
	v_add_f32_e64 v6, v6, 1.0                                  // 00000000B058: D1010006 0001E506
	v_add_f32_e64 v7, v7, 1.0                                  // 00000000B060: D1010007 0001E507
	v_rcp_f32_e32 v4, v4                                       // 00000000B068: 7E084504
	v_rcp_f32_e32 v5, v5                                       // 00000000B06C: 7E0A4505
	v_rcp_f32_e32 v6, v6                                       // 00000000B070: 7E0C4506
	v_rcp_f32_e32 v7, v7                                       // 00000000B074: 7E0E4507
	v_mul_f32_e32 v68, v68, v4                                 // 00000000B078: 0A880944
	v_mul_f32_e32 v69, v69, v5                                 // 00000000B07C: 0A8A0B45
	v_mul_f32_e32 v70, v70, v6                                 // 00000000B080: 0A8C0D46
	v_mul_f32_e32 v71, v71, v7                                 // 00000000B084: 0A8E0F47
	v_mul_f32_e32 v68, v68, v116                               // 00000000B088: 0A88E944
	v_mul_f32_e32 v69, v69, v117                               // 00000000B08C: 0A8AEB45
	v_mul_f32_e32 v70, v70, v118                               // 00000000B090: 0A8CED46
	v_mul_f32_e32 v71, v71, v119                               // 00000000B094: 0A8EEF47
	v_pk_mul_f32 v[4:5], v[72:73], v[72:73]                    // 00000000B098: D3B14004 18029148
	v_pk_mul_f32 v[6:7], v[74:75], v[74:75]                    // 00000000B0A0: D3B14006 1802954A
	v_pk_fma_f32 v[4:5], v[4:5], s[78:79], v[8:9]              // 00000000B0A8: D3B04004 1C209D04
	v_pk_fma_f32 v[6:7], v[6:7], s[78:79], v[8:9]              // 00000000B0B0: D3B04006 1C209D06
	v_pk_mul_f32 v[4:5], v[4:5], v[72:73]                      // 00000000B0B8: D3B14004 18029104
	v_pk_mul_f32 v[6:7], v[6:7], v[74:75]                      // 00000000B0C0: D3B14006 18029506
	v_pk_mul_f32 v[4:5], v[4:5], s[60:61]                      // 00000000B0C8: D3B14004 18007904
	v_pk_mul_f32 v[6:7], v[6:7], s[60:61]                      // 00000000B0D0: D3B14006 18007906
	v_exp_f32_e32 v4, v4                                       // 00000000B0D8: 7E084104
	v_exp_f32_e32 v5, v5                                       // 00000000B0DC: 7E0A4105
	v_exp_f32_e32 v6, v6                                       // 00000000B0E0: 7E0C4106
	v_exp_f32_e32 v7, v7                                       // 00000000B0E4: 7E0E4107
	v_add_f32_e64 v4, v4, 1.0                                  // 00000000B0E8: D1010004 0001E504
	v_add_f32_e64 v5, v5, 1.0                                  // 00000000B0F0: D1010005 0001E505
	v_add_f32_e64 v6, v6, 1.0                                  // 00000000B0F8: D1010006 0001E506
	v_add_f32_e64 v7, v7, 1.0                                  // 00000000B100: D1010007 0001E507
	v_rcp_f32_e32 v4, v4                                       // 00000000B108: 7E084504
	v_rcp_f32_e32 v5, v5                                       // 00000000B10C: 7E0A4505
	v_rcp_f32_e32 v6, v6                                       // 00000000B110: 7E0C4506
	v_rcp_f32_e32 v7, v7                                       // 00000000B114: 7E0E4507
	v_mul_f32_e32 v72, v72, v4                                 // 00000000B118: 0A900948
	v_mul_f32_e32 v73, v73, v5                                 // 00000000B11C: 0A920B49
	v_mul_f32_e32 v74, v74, v6                                 // 00000000B120: 0A940D4A
	v_mul_f32_e32 v75, v75, v7                                 // 00000000B124: 0A960F4B
	v_mul_f32_e32 v72, v72, v120                               // 00000000B128: 0A90F148
	v_mul_f32_e32 v73, v73, v121                               // 00000000B12C: 0A92F349
	v_mul_f32_e32 v74, v74, v122                               // 00000000B130: 0A94F54A
	v_mul_f32_e32 v75, v75, v123                               // 00000000B134: 0A96F74B
	v_pk_mul_f32 v[4:5], v[76:77], v[76:77]                    // 00000000B138: D3B14004 1802994C
	v_pk_mul_f32 v[6:7], v[78:79], v[78:79]                    // 00000000B140: D3B14006 18029D4E
	v_pk_fma_f32 v[4:5], v[4:5], s[78:79], v[8:9]              // 00000000B148: D3B04004 1C209D04
	v_pk_fma_f32 v[6:7], v[6:7], s[78:79], v[8:9]              // 00000000B150: D3B04006 1C209D06
	v_pk_mul_f32 v[4:5], v[4:5], v[76:77]                      // 00000000B158: D3B14004 18029904
	v_pk_mul_f32 v[6:7], v[6:7], v[78:79]                      // 00000000B160: D3B14006 18029D06
	v_pk_mul_f32 v[4:5], v[4:5], s[60:61]                      // 00000000B168: D3B14004 18007904
	v_pk_mul_f32 v[6:7], v[6:7], s[60:61]                      // 00000000B170: D3B14006 18007906
	v_exp_f32_e32 v4, v4                                       // 00000000B178: 7E084104
	v_exp_f32_e32 v5, v5                                       // 00000000B17C: 7E0A4105
	v_exp_f32_e32 v6, v6                                       // 00000000B180: 7E0C4106
	v_exp_f32_e32 v7, v7                                       // 00000000B184: 7E0E4107
	v_add_f32_e64 v4, v4, 1.0                                  // 00000000B188: D1010004 0001E504
	v_add_f32_e64 v5, v5, 1.0                                  // 00000000B190: D1010005 0001E505
	v_add_f32_e64 v6, v6, 1.0                                  // 00000000B198: D1010006 0001E506
	v_add_f32_e64 v7, v7, 1.0                                  // 00000000B1A0: D1010007 0001E507
	v_rcp_f32_e32 v4, v4                                       // 00000000B1A8: 7E084504
	v_rcp_f32_e32 v5, v5                                       // 00000000B1AC: 7E0A4505
	v_rcp_f32_e32 v6, v6                                       // 00000000B1B0: 7E0C4506
	v_rcp_f32_e32 v7, v7                                       // 00000000B1B4: 7E0E4507
	v_mul_f32_e32 v76, v76, v4                                 // 00000000B1B8: 0A98094C
	v_mul_f32_e32 v77, v77, v5                                 // 00000000B1BC: 0A9A0B4D
	v_mul_f32_e32 v78, v78, v6                                 // 00000000B1C0: 0A9C0D4E
	v_mul_f32_e32 v79, v79, v7                                 // 00000000B1C4: 0A9E0F4F
	v_mul_f32_e32 v76, v76, v124                               // 00000000B1C8: 0A98F94C
	v_mul_f32_e32 v77, v77, v125                               // 00000000B1CC: 0A9AFB4D
	v_mul_f32_e32 v78, v78, v126                               // 00000000B1D0: 0A9CFD4E
	v_mul_f32_e32 v79, v79, v127                               // 00000000B1D4: 0A9EFF4F
	v_pk_mul_f32 v[4:5], v[80:81], v[80:81]                    // 00000000B1D8: D3B14004 1802A150
	v_pk_mul_f32 v[6:7], v[82:83], v[82:83]                    // 00000000B1E0: D3B14006 1802A552
	v_pk_fma_f32 v[4:5], v[4:5], s[78:79], v[8:9]              // 00000000B1E8: D3B04004 1C209D04
	v_pk_fma_f32 v[6:7], v[6:7], s[78:79], v[8:9]              // 00000000B1F0: D3B04006 1C209D06
	v_pk_mul_f32 v[4:5], v[4:5], v[80:81]                      // 00000000B1F8: D3B14004 1802A104
	v_pk_mul_f32 v[6:7], v[6:7], v[82:83]                      // 00000000B200: D3B14006 1802A506
	v_pk_mul_f32 v[4:5], v[4:5], s[60:61]                      // 00000000B208: D3B14004 18007904
	v_pk_mul_f32 v[6:7], v[6:7], s[60:61]                      // 00000000B210: D3B14006 18007906
	v_exp_f32_e32 v4, v4                                       // 00000000B218: 7E084104
	v_exp_f32_e32 v5, v5                                       // 00000000B21C: 7E0A4105
	v_exp_f32_e32 v6, v6                                       // 00000000B220: 7E0C4106
	v_exp_f32_e32 v7, v7                                       // 00000000B224: 7E0E4107
	v_add_f32_e64 v4, v4, 1.0                                  // 00000000B228: D1010004 0001E504
	v_add_f32_e64 v5, v5, 1.0                                  // 00000000B230: D1010005 0001E505
	v_add_f32_e64 v6, v6, 1.0                                  // 00000000B238: D1010006 0001E506
	v_add_f32_e64 v7, v7, 1.0                                  // 00000000B240: D1010007 0001E507
	v_rcp_f32_e32 v4, v4                                       // 00000000B248: 7E084504
	v_rcp_f32_e32 v5, v5                                       // 00000000B24C: 7E0A4505
	v_rcp_f32_e32 v6, v6                                       // 00000000B250: 7E0C4506
	v_rcp_f32_e32 v7, v7                                       // 00000000B254: 7E0E4507
	v_mul_f32_e32 v80, v80, v4                                 // 00000000B258: 0AA00950
	v_mul_f32_e32 v81, v81, v5                                 // 00000000B25C: 0AA20B51
	v_mul_f32_e32 v82, v82, v6                                 // 00000000B260: 0AA40D52
	v_mul_f32_e32 v83, v83, v7                                 // 00000000B264: 0AA60F53
	v_mul_f32_e32 v80, v80, v128                               // 00000000B268: 0AA10150
	v_mul_f32_e32 v81, v81, v129                               // 00000000B26C: 0AA30351
	v_mul_f32_e32 v82, v82, v130                               // 00000000B270: 0AA50552
	v_mul_f32_e32 v83, v83, v131                               // 00000000B274: 0AA70753
	v_pk_mul_f32 v[4:5], v[84:85], v[84:85]                    // 00000000B278: D3B14004 1802A954
	v_pk_mul_f32 v[6:7], v[86:87], v[86:87]                    // 00000000B280: D3B14006 1802AD56
	v_pk_fma_f32 v[4:5], v[4:5], s[78:79], v[8:9]              // 00000000B288: D3B04004 1C209D04
	v_pk_fma_f32 v[6:7], v[6:7], s[78:79], v[8:9]              // 00000000B290: D3B04006 1C209D06
	v_pk_mul_f32 v[4:5], v[4:5], v[84:85]                      // 00000000B298: D3B14004 1802A904
	v_pk_mul_f32 v[6:7], v[6:7], v[86:87]                      // 00000000B2A0: D3B14006 1802AD06
	v_pk_mul_f32 v[4:5], v[4:5], s[60:61]                      // 00000000B2A8: D3B14004 18007904
	v_pk_mul_f32 v[6:7], v[6:7], s[60:61]                      // 00000000B2B0: D3B14006 18007906
	v_exp_f32_e32 v4, v4                                       // 00000000B2B8: 7E084104
	v_exp_f32_e32 v5, v5                                       // 00000000B2BC: 7E0A4105
	v_exp_f32_e32 v6, v6                                       // 00000000B2C0: 7E0C4106
	v_exp_f32_e32 v7, v7                                       // 00000000B2C4: 7E0E4107
	v_add_f32_e64 v4, v4, 1.0                                  // 00000000B2C8: D1010004 0001E504
	v_add_f32_e64 v5, v5, 1.0                                  // 00000000B2D0: D1010005 0001E505
	v_add_f32_e64 v6, v6, 1.0                                  // 00000000B2D8: D1010006 0001E506
	v_add_f32_e64 v7, v7, 1.0                                  // 00000000B2E0: D1010007 0001E507
	v_rcp_f32_e32 v4, v4                                       // 00000000B2E8: 7E084504
	v_rcp_f32_e32 v5, v5                                       // 00000000B2EC: 7E0A4505
	v_rcp_f32_e32 v6, v6                                       // 00000000B2F0: 7E0C4506
	v_rcp_f32_e32 v7, v7                                       // 00000000B2F4: 7E0E4507
	v_mul_f32_e32 v84, v84, v4                                 // 00000000B2F8: 0AA80954
	v_mul_f32_e32 v85, v85, v5                                 // 00000000B2FC: 0AAA0B55
	v_mul_f32_e32 v86, v86, v6                                 // 00000000B300: 0AAC0D56
	v_mul_f32_e32 v87, v87, v7                                 // 00000000B304: 0AAE0F57
	v_mul_f32_e32 v84, v84, v132                               // 00000000B308: 0AA90954
	v_mul_f32_e32 v85, v85, v133                               // 00000000B30C: 0AAB0B55
	v_mul_f32_e32 v86, v86, v134                               // 00000000B310: 0AAD0D56
	v_mul_f32_e32 v87, v87, v135                               // 00000000B314: 0AAF0F57
	v_pk_mul_f32 v[4:5], v[88:89], v[88:89]                    // 00000000B318: D3B14004 1802B158
	v_pk_mul_f32 v[6:7], v[90:91], v[90:91]                    // 00000000B320: D3B14006 1802B55A
	v_pk_fma_f32 v[4:5], v[4:5], s[78:79], v[8:9]              // 00000000B328: D3B04004 1C209D04
	v_pk_fma_f32 v[6:7], v[6:7], s[78:79], v[8:9]              // 00000000B330: D3B04006 1C209D06
	v_pk_mul_f32 v[4:5], v[4:5], v[88:89]                      // 00000000B338: D3B14004 1802B104
	v_pk_mul_f32 v[6:7], v[6:7], v[90:91]                      // 00000000B340: D3B14006 1802B506
	v_pk_mul_f32 v[4:5], v[4:5], s[60:61]                      // 00000000B348: D3B14004 18007904
	v_pk_mul_f32 v[6:7], v[6:7], s[60:61]                      // 00000000B350: D3B14006 18007906
	v_exp_f32_e32 v4, v4                                       // 00000000B358: 7E084104
	v_exp_f32_e32 v5, v5                                       // 00000000B35C: 7E0A4105
	v_exp_f32_e32 v6, v6                                       // 00000000B360: 7E0C4106
	v_exp_f32_e32 v7, v7                                       // 00000000B364: 7E0E4107
	v_add_f32_e64 v4, v4, 1.0                                  // 00000000B368: D1010004 0001E504
	v_add_f32_e64 v5, v5, 1.0                                  // 00000000B370: D1010005 0001E505
	v_add_f32_e64 v6, v6, 1.0                                  // 00000000B378: D1010006 0001E506
	v_add_f32_e64 v7, v7, 1.0                                  // 00000000B380: D1010007 0001E507
	v_rcp_f32_e32 v4, v4                                       // 00000000B388: 7E084504
	v_rcp_f32_e32 v5, v5                                       // 00000000B38C: 7E0A4505
	v_rcp_f32_e32 v6, v6                                       // 00000000B390: 7E0C4506
	v_rcp_f32_e32 v7, v7                                       // 00000000B394: 7E0E4507
	v_mul_f32_e32 v88, v88, v4                                 // 00000000B398: 0AB00958
	v_mul_f32_e32 v89, v89, v5                                 // 00000000B39C: 0AB20B59
	v_mul_f32_e32 v90, v90, v6                                 // 00000000B3A0: 0AB40D5A
	v_mul_f32_e32 v91, v91, v7                                 // 00000000B3A4: 0AB60F5B
	v_mul_f32_e32 v88, v88, v136                               // 00000000B3A8: 0AB11158
	v_mul_f32_e32 v89, v89, v137                               // 00000000B3AC: 0AB31359
	v_mul_f32_e32 v90, v90, v138                               // 00000000B3B0: 0AB5155A
	v_mul_f32_e32 v91, v91, v139                               // 00000000B3B4: 0AB7175B
	v_pk_mul_f32 v[4:5], v[92:93], v[92:93]                    // 00000000B3B8: D3B14004 1802B95C
	v_pk_mul_f32 v[6:7], v[94:95], v[94:95]                    // 00000000B3C0: D3B14006 1802BD5E
	v_pk_fma_f32 v[4:5], v[4:5], s[78:79], v[8:9]              // 00000000B3C8: D3B04004 1C209D04
	v_pk_fma_f32 v[6:7], v[6:7], s[78:79], v[8:9]              // 00000000B3D0: D3B04006 1C209D06
	v_pk_mul_f32 v[4:5], v[4:5], v[92:93]                      // 00000000B3D8: D3B14004 1802B904
	v_pk_mul_f32 v[6:7], v[6:7], v[94:95]                      // 00000000B3E0: D3B14006 1802BD06
	v_pk_mul_f32 v[4:5], v[4:5], s[60:61]                      // 00000000B3E8: D3B14004 18007904
	v_pk_mul_f32 v[6:7], v[6:7], s[60:61]                      // 00000000B3F0: D3B14006 18007906
	v_exp_f32_e32 v4, v4                                       // 00000000B3F8: 7E084104
	v_exp_f32_e32 v5, v5                                       // 00000000B3FC: 7E0A4105
	v_exp_f32_e32 v6, v6                                       // 00000000B400: 7E0C4106
	v_exp_f32_e32 v7, v7                                       // 00000000B404: 7E0E4107
	v_add_f32_e64 v4, v4, 1.0                                  // 00000000B408: D1010004 0001E504
	v_add_f32_e64 v5, v5, 1.0                                  // 00000000B410: D1010005 0001E505
	v_add_f32_e64 v6, v6, 1.0                                  // 00000000B418: D1010006 0001E506
	v_add_f32_e64 v7, v7, 1.0                                  // 00000000B420: D1010007 0001E507
	v_rcp_f32_e32 v4, v4                                       // 00000000B428: 7E084504
	v_rcp_f32_e32 v5, v5                                       // 00000000B42C: 7E0A4505
	v_rcp_f32_e32 v6, v6                                       // 00000000B430: 7E0C4506
	v_rcp_f32_e32 v7, v7                                       // 00000000B434: 7E0E4507
	v_mul_f32_e32 v92, v92, v4                                 // 00000000B438: 0AB8095C
	v_mul_f32_e32 v93, v93, v5                                 // 00000000B43C: 0ABA0B5D
	v_mul_f32_e32 v94, v94, v6                                 // 00000000B440: 0ABC0D5E
	v_mul_f32_e32 v95, v95, v7                                 // 00000000B444: 0ABE0F5F
	v_mul_f32_e32 v92, v92, v140                               // 00000000B448: 0AB9195C
	v_mul_f32_e32 v93, v93, v141                               // 00000000B44C: 0ABB1B5D
	v_mul_f32_e32 v94, v94, v142                               // 00000000B450: 0ABD1D5E
	v_mul_f32_e32 v95, v95, v143                               // 00000000B454: 0ABF1F5F
	v_pk_mul_f32 v[4:5], v[96:97], v[96:97]                    // 00000000B458: D3B14004 1802C160
	v_pk_mul_f32 v[6:7], v[98:99], v[98:99]                    // 00000000B460: D3B14006 1802C562
	v_pk_fma_f32 v[4:5], v[4:5], s[78:79], v[8:9]              // 00000000B468: D3B04004 1C209D04
	v_pk_fma_f32 v[6:7], v[6:7], s[78:79], v[8:9]              // 00000000B470: D3B04006 1C209D06
	v_pk_mul_f32 v[4:5], v[4:5], v[96:97]                      // 00000000B478: D3B14004 1802C104
	v_pk_mul_f32 v[6:7], v[6:7], v[98:99]                      // 00000000B480: D3B14006 1802C506
	v_pk_mul_f32 v[4:5], v[4:5], s[60:61]                      // 00000000B488: D3B14004 18007904
	v_pk_mul_f32 v[6:7], v[6:7], s[60:61]                      // 00000000B490: D3B14006 18007906
	v_exp_f32_e32 v4, v4                                       // 00000000B498: 7E084104
	v_exp_f32_e32 v5, v5                                       // 00000000B49C: 7E0A4105
	v_exp_f32_e32 v6, v6                                       // 00000000B4A0: 7E0C4106
	v_exp_f32_e32 v7, v7                                       // 00000000B4A4: 7E0E4107
	v_add_f32_e64 v4, v4, 1.0                                  // 00000000B4A8: D1010004 0001E504
	v_add_f32_e64 v5, v5, 1.0                                  // 00000000B4B0: D1010005 0001E505
	v_add_f32_e64 v6, v6, 1.0                                  // 00000000B4B8: D1010006 0001E506
	v_add_f32_e64 v7, v7, 1.0                                  // 00000000B4C0: D1010007 0001E507
	v_rcp_f32_e32 v4, v4                                       // 00000000B4C8: 7E084504
	v_rcp_f32_e32 v5, v5                                       // 00000000B4CC: 7E0A4505
	v_rcp_f32_e32 v6, v6                                       // 00000000B4D0: 7E0C4506
	v_rcp_f32_e32 v7, v7                                       // 00000000B4D4: 7E0E4507
	v_mul_f32_e32 v96, v96, v4                                 // 00000000B4D8: 0AC00960
	v_mul_f32_e32 v97, v97, v5                                 // 00000000B4DC: 0AC20B61
	v_mul_f32_e32 v98, v98, v6                                 // 00000000B4E0: 0AC40D62
	v_mul_f32_e32 v99, v99, v7                                 // 00000000B4E4: 0AC60F63
	v_mul_f32_e32 v96, v96, v144                               // 00000000B4E8: 0AC12160
	v_mul_f32_e32 v97, v97, v145                               // 00000000B4EC: 0AC32361
	v_mul_f32_e32 v98, v98, v146                               // 00000000B4F0: 0AC52562
	v_mul_f32_e32 v99, v99, v147                               // 00000000B4F4: 0AC72763
	v_pk_mul_f32 v[4:5], v[100:101], v[100:101]                // 00000000B4F8: D3B14004 1802C964
	v_pk_mul_f32 v[6:7], v[102:103], v[102:103]                // 00000000B500: D3B14006 1802CD66
	v_pk_fma_f32 v[4:5], v[4:5], s[78:79], v[8:9]              // 00000000B508: D3B04004 1C209D04
	v_pk_fma_f32 v[6:7], v[6:7], s[78:79], v[8:9]              // 00000000B510: D3B04006 1C209D06
	v_pk_mul_f32 v[4:5], v[4:5], v[100:101]                    // 00000000B518: D3B14004 1802C904
	v_pk_mul_f32 v[6:7], v[6:7], v[102:103]                    // 00000000B520: D3B14006 1802CD06
	v_pk_mul_f32 v[4:5], v[4:5], s[60:61]                      // 00000000B528: D3B14004 18007904
	v_pk_mul_f32 v[6:7], v[6:7], s[60:61]                      // 00000000B530: D3B14006 18007906
	v_exp_f32_e32 v4, v4                                       // 00000000B538: 7E084104
	v_exp_f32_e32 v5, v5                                       // 00000000B53C: 7E0A4105
	v_exp_f32_e32 v6, v6                                       // 00000000B540: 7E0C4106
	v_exp_f32_e32 v7, v7                                       // 00000000B544: 7E0E4107
	v_add_f32_e64 v4, v4, 1.0                                  // 00000000B548: D1010004 0001E504
	v_add_f32_e64 v5, v5, 1.0                                  // 00000000B550: D1010005 0001E505
	v_add_f32_e64 v6, v6, 1.0                                  // 00000000B558: D1010006 0001E506
	v_add_f32_e64 v7, v7, 1.0                                  // 00000000B560: D1010007 0001E507
	v_rcp_f32_e32 v4, v4                                       // 00000000B568: 7E084504
	v_rcp_f32_e32 v5, v5                                       // 00000000B56C: 7E0A4505
	v_rcp_f32_e32 v6, v6                                       // 00000000B570: 7E0C4506
	v_rcp_f32_e32 v7, v7                                       // 00000000B574: 7E0E4507
	v_mul_f32_e32 v100, v100, v4                               // 00000000B578: 0AC80964
	v_mul_f32_e32 v101, v101, v5                               // 00000000B57C: 0ACA0B65
	v_mul_f32_e32 v102, v102, v6                               // 00000000B580: 0ACC0D66
	v_mul_f32_e32 v103, v103, v7                               // 00000000B584: 0ACE0F67
	v_mul_f32_e32 v100, v100, v148                             // 00000000B588: 0AC92964
	v_mul_f32_e32 v101, v101, v149                             // 00000000B58C: 0ACB2B65
	v_mul_f32_e32 v102, v102, v150                             // 00000000B590: 0ACD2D66
	v_mul_f32_e32 v103, v103, v151                             // 00000000B594: 0ACF2F67
	v_pk_mul_f32 v[4:5], v[104:105], v[104:105]                // 00000000B598: D3B14004 1802D168
	v_pk_mul_f32 v[6:7], v[106:107], v[106:107]                // 00000000B5A0: D3B14006 1802D56A
	v_pk_fma_f32 v[4:5], v[4:5], s[78:79], v[8:9]              // 00000000B5A8: D3B04004 1C209D04
	v_pk_fma_f32 v[6:7], v[6:7], s[78:79], v[8:9]              // 00000000B5B0: D3B04006 1C209D06
	v_pk_mul_f32 v[4:5], v[4:5], v[104:105]                    // 00000000B5B8: D3B14004 1802D104
	v_pk_mul_f32 v[6:7], v[6:7], v[106:107]                    // 00000000B5C0: D3B14006 1802D506
	v_pk_mul_f32 v[4:5], v[4:5], s[60:61]                      // 00000000B5C8: D3B14004 18007904
	v_pk_mul_f32 v[6:7], v[6:7], s[60:61]                      // 00000000B5D0: D3B14006 18007906
	v_exp_f32_e32 v4, v4                                       // 00000000B5D8: 7E084104
	v_exp_f32_e32 v5, v5                                       // 00000000B5DC: 7E0A4105
	v_exp_f32_e32 v6, v6                                       // 00000000B5E0: 7E0C4106
	v_exp_f32_e32 v7, v7                                       // 00000000B5E4: 7E0E4107
	v_add_f32_e64 v4, v4, 1.0                                  // 00000000B5E8: D1010004 0001E504
	v_add_f32_e64 v5, v5, 1.0                                  // 00000000B5F0: D1010005 0001E505
	v_add_f32_e64 v6, v6, 1.0                                  // 00000000B5F8: D1010006 0001E506
	v_add_f32_e64 v7, v7, 1.0                                  // 00000000B600: D1010007 0001E507
	v_rcp_f32_e32 v4, v4                                       // 00000000B608: 7E084504
	v_rcp_f32_e32 v5, v5                                       // 00000000B60C: 7E0A4505
	v_rcp_f32_e32 v6, v6                                       // 00000000B610: 7E0C4506
	v_rcp_f32_e32 v7, v7                                       // 00000000B614: 7E0E4507
	v_mul_f32_e32 v104, v104, v4                               // 00000000B618: 0AD00968
	v_mul_f32_e32 v105, v105, v5                               // 00000000B61C: 0AD20B69
	v_mul_f32_e32 v106, v106, v6                               // 00000000B620: 0AD40D6A
	v_mul_f32_e32 v107, v107, v7                               // 00000000B624: 0AD60F6B
	v_mul_f32_e32 v104, v104, v152                             // 00000000B628: 0AD13168
	v_mul_f32_e32 v105, v105, v153                             // 00000000B62C: 0AD33369
	v_mul_f32_e32 v106, v106, v154                             // 00000000B630: 0AD5356A
	v_mul_f32_e32 v107, v107, v155                             // 00000000B634: 0AD7376B
	v_pk_mul_f32 v[4:5], v[108:109], v[108:109]                // 00000000B638: D3B14004 1802D96C
	v_pk_mul_f32 v[6:7], v[110:111], v[110:111]                // 00000000B640: D3B14006 1802DD6E
	v_pk_fma_f32 v[4:5], v[4:5], s[78:79], v[8:9]              // 00000000B648: D3B04004 1C209D04
	v_pk_fma_f32 v[6:7], v[6:7], s[78:79], v[8:9]              // 00000000B650: D3B04006 1C209D06
	v_pk_mul_f32 v[4:5], v[4:5], v[108:109]                    // 00000000B658: D3B14004 1802D904
	v_pk_mul_f32 v[6:7], v[6:7], v[110:111]                    // 00000000B660: D3B14006 1802DD06
	v_pk_mul_f32 v[4:5], v[4:5], s[60:61]                      // 00000000B668: D3B14004 18007904
	v_pk_mul_f32 v[6:7], v[6:7], s[60:61]                      // 00000000B670: D3B14006 18007906
	v_exp_f32_e32 v4, v4                                       // 00000000B678: 7E084104
	v_exp_f32_e32 v5, v5                                       // 00000000B67C: 7E0A4105
	v_exp_f32_e32 v6, v6                                       // 00000000B680: 7E0C4106
	v_exp_f32_e32 v7, v7                                       // 00000000B684: 7E0E4107
	v_add_f32_e64 v4, v4, 1.0                                  // 00000000B688: D1010004 0001E504
	v_add_f32_e64 v5, v5, 1.0                                  // 00000000B690: D1010005 0001E505
	v_add_f32_e64 v6, v6, 1.0                                  // 00000000B698: D1010006 0001E506
	v_add_f32_e64 v7, v7, 1.0                                  // 00000000B6A0: D1010007 0001E507
	v_rcp_f32_e32 v4, v4                                       // 00000000B6A8: 7E084504
	v_rcp_f32_e32 v5, v5                                       // 00000000B6AC: 7E0A4505
	v_rcp_f32_e32 v6, v6                                       // 00000000B6B0: 7E0C4506
	v_rcp_f32_e32 v7, v7                                       // 00000000B6B4: 7E0E4507
	v_mul_f32_e32 v108, v108, v4                               // 00000000B6B8: 0AD8096C
	v_mul_f32_e32 v109, v109, v5                               // 00000000B6BC: 0ADA0B6D
	v_mul_f32_e32 v110, v110, v6                               // 00000000B6C0: 0ADC0D6E
	v_mul_f32_e32 v111, v111, v7                               // 00000000B6C4: 0ADE0F6F
	v_mul_f32_e32 v108, v108, v156                             // 00000000B6C8: 0AD9396C
	v_mul_f32_e32 v109, v109, v157                             // 00000000B6CC: 0ADB3B6D
	v_mul_f32_e32 v110, v110, v158                             // 00000000B6D0: 0ADD3D6E
	v_mul_f32_e32 v111, v111, v159                             // 00000000B6D4: 0ADF3F6F
	v_pk_mul_f32 v[4:5], v[112:113], v[112:113]                // 00000000B6D8: D3B14004 1802E170
	v_pk_mul_f32 v[6:7], v[114:115], v[114:115]                // 00000000B6E0: D3B14006 1802E572
	v_pk_fma_f32 v[4:5], v[4:5], s[78:79], v[8:9]              // 00000000B6E8: D3B04004 1C209D04
	v_pk_fma_f32 v[6:7], v[6:7], s[78:79], v[8:9]              // 00000000B6F0: D3B04006 1C209D06
	v_pk_mul_f32 v[4:5], v[4:5], v[112:113]                    // 00000000B6F8: D3B14004 1802E104
	v_pk_mul_f32 v[6:7], v[6:7], v[114:115]                    // 00000000B700: D3B14006 1802E506
	v_pk_mul_f32 v[4:5], v[4:5], s[60:61]                      // 00000000B708: D3B14004 18007904
	v_pk_mul_f32 v[6:7], v[6:7], s[60:61]                      // 00000000B710: D3B14006 18007906
	v_exp_f32_e32 v4, v4                                       // 00000000B718: 7E084104
	v_exp_f32_e32 v5, v5                                       // 00000000B71C: 7E0A4105
	v_exp_f32_e32 v6, v6                                       // 00000000B720: 7E0C4106
	v_exp_f32_e32 v7, v7                                       // 00000000B724: 7E0E4107
	v_add_f32_e64 v4, v4, 1.0                                  // 00000000B728: D1010004 0001E504
	v_add_f32_e64 v5, v5, 1.0                                  // 00000000B730: D1010005 0001E505
	v_add_f32_e64 v6, v6, 1.0                                  // 00000000B738: D1010006 0001E506
	v_add_f32_e64 v7, v7, 1.0                                  // 00000000B740: D1010007 0001E507
	v_rcp_f32_e32 v4, v4                                       // 00000000B748: 7E084504
	v_rcp_f32_e32 v5, v5                                       // 00000000B74C: 7E0A4505
	v_rcp_f32_e32 v6, v6                                       // 00000000B750: 7E0C4506
	v_rcp_f32_e32 v7, v7                                       // 00000000B754: 7E0E4507
	v_mul_f32_e32 v112, v112, v4                               // 00000000B758: 0AE00970
	v_mul_f32_e32 v113, v113, v5                               // 00000000B75C: 0AE20B71
	v_mul_f32_e32 v114, v114, v6                               // 00000000B760: 0AE40D72
	v_mul_f32_e32 v115, v115, v7                               // 00000000B764: 0AE60F73
	v_mul_f32_e32 v112, v112, v160                             // 00000000B768: 0AE14170
	v_mul_f32_e32 v113, v113, v161                             // 00000000B76C: 0AE34371
	v_mul_f32_e32 v114, v114, v162                             // 00000000B770: 0AE54572
	v_mul_f32_e32 v115, v115, v163                             // 00000000B774: 0AE74773
	s_branch label_24E2                                        // 00000000B778: BF820180

000000000000b77c <label_2362>:
	v_mul_f32_e64 v4, -v68, s6                                 // 00000000B77C: D1050004 20000D44
	v_mul_f32_e64 v5, -v69, s6                                 // 00000000B784: D1050005 20000D45
	v_mul_f32_e64 v6, -v70, s6                                 // 00000000B78C: D1050006 20000D46
	v_mul_f32_e64 v7, -v71, s6                                 // 00000000B794: D1050007 20000D47
	v_exp_f32_e32 v4, v4                                       // 00000000B79C: 7E084104
	v_exp_f32_e32 v5, v5                                       // 00000000B7A0: 7E0A4105
	v_exp_f32_e32 v6, v6                                       // 00000000B7A4: 7E0C4106
	v_exp_f32_e32 v7, v7                                       // 00000000B7A8: 7E0E4107
	v_add_f32_e64 v4, v4, 1.0                                  // 00000000B7AC: D1010004 0001E504
	v_add_f32_e64 v5, v5, 1.0                                  // 00000000B7B4: D1010005 0001E505
	v_add_f32_e64 v6, v6, 1.0                                  // 00000000B7BC: D1010006 0001E506
	v_add_f32_e64 v7, v7, 1.0                                  // 00000000B7C4: D1010007 0001E507
	v_rcp_f32_e32 v4, v4                                       // 00000000B7CC: 7E084504
	v_rcp_f32_e32 v5, v5                                       // 00000000B7D0: 7E0A4505
	v_rcp_f32_e32 v6, v6                                       // 00000000B7D4: 7E0C4506
	v_rcp_f32_e32 v7, v7                                       // 00000000B7D8: 7E0E4507
	v_mul_f32_e32 v68, v68, v4                                 // 00000000B7DC: 0A880944
	v_mul_f32_e32 v69, v69, v5                                 // 00000000B7E0: 0A8A0B45
	v_mul_f32_e32 v70, v70, v6                                 // 00000000B7E4: 0A8C0D46
	v_mul_f32_e32 v71, v71, v7                                 // 00000000B7E8: 0A8E0F47
	v_mul_f32_e32 v68, v68, v116                               // 00000000B7EC: 0A88E944
	v_mul_f32_e32 v69, v69, v117                               // 00000000B7F0: 0A8AEB45
	v_mul_f32_e32 v70, v70, v118                               // 00000000B7F4: 0A8CED46
	v_mul_f32_e32 v71, v71, v119                               // 00000000B7F8: 0A8EEF47
	v_mul_f32_e64 v4, -v72, s6                                 // 00000000B7FC: D1050004 20000D48
	v_mul_f32_e64 v5, -v73, s6                                 // 00000000B804: D1050005 20000D49
	v_mul_f32_e64 v6, -v74, s6                                 // 00000000B80C: D1050006 20000D4A
	v_mul_f32_e64 v7, -v75, s6                                 // 00000000B814: D1050007 20000D4B
	v_exp_f32_e32 v4, v4                                       // 00000000B81C: 7E084104
	v_exp_f32_e32 v5, v5                                       // 00000000B820: 7E0A4105
	v_exp_f32_e32 v6, v6                                       // 00000000B824: 7E0C4106
	v_exp_f32_e32 v7, v7                                       // 00000000B828: 7E0E4107
	v_add_f32_e64 v4, v4, 1.0                                  // 00000000B82C: D1010004 0001E504
	v_add_f32_e64 v5, v5, 1.0                                  // 00000000B834: D1010005 0001E505
	v_add_f32_e64 v6, v6, 1.0                                  // 00000000B83C: D1010006 0001E506
	v_add_f32_e64 v7, v7, 1.0                                  // 00000000B844: D1010007 0001E507
	v_rcp_f32_e32 v4, v4                                       // 00000000B84C: 7E084504
	v_rcp_f32_e32 v5, v5                                       // 00000000B850: 7E0A4505
	v_rcp_f32_e32 v6, v6                                       // 00000000B854: 7E0C4506
	v_rcp_f32_e32 v7, v7                                       // 00000000B858: 7E0E4507
	v_mul_f32_e32 v72, v72, v4                                 // 00000000B85C: 0A900948
	v_mul_f32_e32 v73, v73, v5                                 // 00000000B860: 0A920B49
	v_mul_f32_e32 v74, v74, v6                                 // 00000000B864: 0A940D4A
	v_mul_f32_e32 v75, v75, v7                                 // 00000000B868: 0A960F4B
	v_mul_f32_e32 v72, v72, v120                               // 00000000B86C: 0A90F148
	v_mul_f32_e32 v73, v73, v121                               // 00000000B870: 0A92F349
	v_mul_f32_e32 v74, v74, v122                               // 00000000B874: 0A94F54A
	v_mul_f32_e32 v75, v75, v123                               // 00000000B878: 0A96F74B
	v_mul_f32_e64 v4, -v76, s6                                 // 00000000B87C: D1050004 20000D4C
	v_mul_f32_e64 v5, -v77, s6                                 // 00000000B884: D1050005 20000D4D
	v_mul_f32_e64 v6, -v78, s6                                 // 00000000B88C: D1050006 20000D4E
	v_mul_f32_e64 v7, -v79, s6                                 // 00000000B894: D1050007 20000D4F
	v_exp_f32_e32 v4, v4                                       // 00000000B89C: 7E084104
	v_exp_f32_e32 v5, v5                                       // 00000000B8A0: 7E0A4105
	v_exp_f32_e32 v6, v6                                       // 00000000B8A4: 7E0C4106
	v_exp_f32_e32 v7, v7                                       // 00000000B8A8: 7E0E4107
	v_add_f32_e64 v4, v4, 1.0                                  // 00000000B8AC: D1010004 0001E504
	v_add_f32_e64 v5, v5, 1.0                                  // 00000000B8B4: D1010005 0001E505
	v_add_f32_e64 v6, v6, 1.0                                  // 00000000B8BC: D1010006 0001E506
	v_add_f32_e64 v7, v7, 1.0                                  // 00000000B8C4: D1010007 0001E507
	v_rcp_f32_e32 v4, v4                                       // 00000000B8CC: 7E084504
	v_rcp_f32_e32 v5, v5                                       // 00000000B8D0: 7E0A4505
	v_rcp_f32_e32 v6, v6                                       // 00000000B8D4: 7E0C4506
	v_rcp_f32_e32 v7, v7                                       // 00000000B8D8: 7E0E4507
	v_mul_f32_e32 v76, v76, v4                                 // 00000000B8DC: 0A98094C
	v_mul_f32_e32 v77, v77, v5                                 // 00000000B8E0: 0A9A0B4D
	v_mul_f32_e32 v78, v78, v6                                 // 00000000B8E4: 0A9C0D4E
	v_mul_f32_e32 v79, v79, v7                                 // 00000000B8E8: 0A9E0F4F
	v_mul_f32_e32 v76, v76, v124                               // 00000000B8EC: 0A98F94C
	v_mul_f32_e32 v77, v77, v125                               // 00000000B8F0: 0A9AFB4D
	v_mul_f32_e32 v78, v78, v126                               // 00000000B8F4: 0A9CFD4E
	v_mul_f32_e32 v79, v79, v127                               // 00000000B8F8: 0A9EFF4F
	v_mul_f32_e64 v4, -v80, s6                                 // 00000000B8FC: D1050004 20000D50
	v_mul_f32_e64 v5, -v81, s6                                 // 00000000B904: D1050005 20000D51
	v_mul_f32_e64 v6, -v82, s6                                 // 00000000B90C: D1050006 20000D52
	v_mul_f32_e64 v7, -v83, s6                                 // 00000000B914: D1050007 20000D53
	v_exp_f32_e32 v4, v4                                       // 00000000B91C: 7E084104
	v_exp_f32_e32 v5, v5                                       // 00000000B920: 7E0A4105
	v_exp_f32_e32 v6, v6                                       // 00000000B924: 7E0C4106
	v_exp_f32_e32 v7, v7                                       // 00000000B928: 7E0E4107
	v_add_f32_e64 v4, v4, 1.0                                  // 00000000B92C: D1010004 0001E504
	v_add_f32_e64 v5, v5, 1.0                                  // 00000000B934: D1010005 0001E505
	v_add_f32_e64 v6, v6, 1.0                                  // 00000000B93C: D1010006 0001E506
	v_add_f32_e64 v7, v7, 1.0                                  // 00000000B944: D1010007 0001E507
	v_rcp_f32_e32 v4, v4                                       // 00000000B94C: 7E084504
	v_rcp_f32_e32 v5, v5                                       // 00000000B950: 7E0A4505
	v_rcp_f32_e32 v6, v6                                       // 00000000B954: 7E0C4506
	v_rcp_f32_e32 v7, v7                                       // 00000000B958: 7E0E4507
	v_mul_f32_e32 v80, v80, v4                                 // 00000000B95C: 0AA00950
	v_mul_f32_e32 v81, v81, v5                                 // 00000000B960: 0AA20B51
	v_mul_f32_e32 v82, v82, v6                                 // 00000000B964: 0AA40D52
	v_mul_f32_e32 v83, v83, v7                                 // 00000000B968: 0AA60F53
	v_mul_f32_e32 v80, v80, v128                               // 00000000B96C: 0AA10150
	v_mul_f32_e32 v81, v81, v129                               // 00000000B970: 0AA30351
	v_mul_f32_e32 v82, v82, v130                               // 00000000B974: 0AA50552
	v_mul_f32_e32 v83, v83, v131                               // 00000000B978: 0AA70753
	v_mul_f32_e64 v4, -v84, s6                                 // 00000000B97C: D1050004 20000D54
	v_mul_f32_e64 v5, -v85, s6                                 // 00000000B984: D1050005 20000D55
	v_mul_f32_e64 v6, -v86, s6                                 // 00000000B98C: D1050006 20000D56
	v_mul_f32_e64 v7, -v87, s6                                 // 00000000B994: D1050007 20000D57
	v_exp_f32_e32 v4, v4                                       // 00000000B99C: 7E084104
	v_exp_f32_e32 v5, v5                                       // 00000000B9A0: 7E0A4105
	v_exp_f32_e32 v6, v6                                       // 00000000B9A4: 7E0C4106
	v_exp_f32_e32 v7, v7                                       // 00000000B9A8: 7E0E4107
	v_add_f32_e64 v4, v4, 1.0                                  // 00000000B9AC: D1010004 0001E504
	v_add_f32_e64 v5, v5, 1.0                                  // 00000000B9B4: D1010005 0001E505
	v_add_f32_e64 v6, v6, 1.0                                  // 00000000B9BC: D1010006 0001E506
	v_add_f32_e64 v7, v7, 1.0                                  // 00000000B9C4: D1010007 0001E507
	v_rcp_f32_e32 v4, v4                                       // 00000000B9CC: 7E084504
	v_rcp_f32_e32 v5, v5                                       // 00000000B9D0: 7E0A4505
	v_rcp_f32_e32 v6, v6                                       // 00000000B9D4: 7E0C4506
	v_rcp_f32_e32 v7, v7                                       // 00000000B9D8: 7E0E4507
	v_mul_f32_e32 v84, v84, v4                                 // 00000000B9DC: 0AA80954
	v_mul_f32_e32 v85, v85, v5                                 // 00000000B9E0: 0AAA0B55
	v_mul_f32_e32 v86, v86, v6                                 // 00000000B9E4: 0AAC0D56
	v_mul_f32_e32 v87, v87, v7                                 // 00000000B9E8: 0AAE0F57
	v_mul_f32_e32 v84, v84, v132                               // 00000000B9EC: 0AA90954
	v_mul_f32_e32 v85, v85, v133                               // 00000000B9F0: 0AAB0B55
	v_mul_f32_e32 v86, v86, v134                               // 00000000B9F4: 0AAD0D56
	v_mul_f32_e32 v87, v87, v135                               // 00000000B9F8: 0AAF0F57
	v_mul_f32_e64 v4, -v88, s6                                 // 00000000B9FC: D1050004 20000D58
	v_mul_f32_e64 v5, -v89, s6                                 // 00000000BA04: D1050005 20000D59
	v_mul_f32_e64 v6, -v90, s6                                 // 00000000BA0C: D1050006 20000D5A
	v_mul_f32_e64 v7, -v91, s6                                 // 00000000BA14: D1050007 20000D5B
	v_exp_f32_e32 v4, v4                                       // 00000000BA1C: 7E084104
	v_exp_f32_e32 v5, v5                                       // 00000000BA20: 7E0A4105
	v_exp_f32_e32 v6, v6                                       // 00000000BA24: 7E0C4106
	v_exp_f32_e32 v7, v7                                       // 00000000BA28: 7E0E4107
	v_add_f32_e64 v4, v4, 1.0                                  // 00000000BA2C: D1010004 0001E504
	v_add_f32_e64 v5, v5, 1.0                                  // 00000000BA34: D1010005 0001E505
	v_add_f32_e64 v6, v6, 1.0                                  // 00000000BA3C: D1010006 0001E506
	v_add_f32_e64 v7, v7, 1.0                                  // 00000000BA44: D1010007 0001E507
	v_rcp_f32_e32 v4, v4                                       // 00000000BA4C: 7E084504
	v_rcp_f32_e32 v5, v5                                       // 00000000BA50: 7E0A4505
	v_rcp_f32_e32 v6, v6                                       // 00000000BA54: 7E0C4506
	v_rcp_f32_e32 v7, v7                                       // 00000000BA58: 7E0E4507
	v_mul_f32_e32 v88, v88, v4                                 // 00000000BA5C: 0AB00958
	v_mul_f32_e32 v89, v89, v5                                 // 00000000BA60: 0AB20B59
	v_mul_f32_e32 v90, v90, v6                                 // 00000000BA64: 0AB40D5A
	v_mul_f32_e32 v91, v91, v7                                 // 00000000BA68: 0AB60F5B
	v_mul_f32_e32 v88, v88, v136                               // 00000000BA6C: 0AB11158
	v_mul_f32_e32 v89, v89, v137                               // 00000000BA70: 0AB31359
	v_mul_f32_e32 v90, v90, v138                               // 00000000BA74: 0AB5155A
	v_mul_f32_e32 v91, v91, v139                               // 00000000BA78: 0AB7175B
	v_mul_f32_e64 v4, -v92, s6                                 // 00000000BA7C: D1050004 20000D5C
	v_mul_f32_e64 v5, -v93, s6                                 // 00000000BA84: D1050005 20000D5D
	v_mul_f32_e64 v6, -v94, s6                                 // 00000000BA8C: D1050006 20000D5E
	v_mul_f32_e64 v7, -v95, s6                                 // 00000000BA94: D1050007 20000D5F
	v_exp_f32_e32 v4, v4                                       // 00000000BA9C: 7E084104
	v_exp_f32_e32 v5, v5                                       // 00000000BAA0: 7E0A4105
	v_exp_f32_e32 v6, v6                                       // 00000000BAA4: 7E0C4106
	v_exp_f32_e32 v7, v7                                       // 00000000BAA8: 7E0E4107
	v_add_f32_e64 v4, v4, 1.0                                  // 00000000BAAC: D1010004 0001E504
	v_add_f32_e64 v5, v5, 1.0                                  // 00000000BAB4: D1010005 0001E505
	v_add_f32_e64 v6, v6, 1.0                                  // 00000000BABC: D1010006 0001E506
	v_add_f32_e64 v7, v7, 1.0                                  // 00000000BAC4: D1010007 0001E507
	v_rcp_f32_e32 v4, v4                                       // 00000000BACC: 7E084504
	v_rcp_f32_e32 v5, v5                                       // 00000000BAD0: 7E0A4505
	v_rcp_f32_e32 v6, v6                                       // 00000000BAD4: 7E0C4506
	v_rcp_f32_e32 v7, v7                                       // 00000000BAD8: 7E0E4507
	v_mul_f32_e32 v92, v92, v4                                 // 00000000BADC: 0AB8095C
	v_mul_f32_e32 v93, v93, v5                                 // 00000000BAE0: 0ABA0B5D
	v_mul_f32_e32 v94, v94, v6                                 // 00000000BAE4: 0ABC0D5E
	v_mul_f32_e32 v95, v95, v7                                 // 00000000BAE8: 0ABE0F5F
	v_mul_f32_e32 v92, v92, v140                               // 00000000BAEC: 0AB9195C
	v_mul_f32_e32 v93, v93, v141                               // 00000000BAF0: 0ABB1B5D
	v_mul_f32_e32 v94, v94, v142                               // 00000000BAF4: 0ABD1D5E
	v_mul_f32_e32 v95, v95, v143                               // 00000000BAF8: 0ABF1F5F
	v_mul_f32_e64 v4, -v96, s6                                 // 00000000BAFC: D1050004 20000D60
	v_mul_f32_e64 v5, -v97, s6                                 // 00000000BB04: D1050005 20000D61
	v_mul_f32_e64 v6, -v98, s6                                 // 00000000BB0C: D1050006 20000D62
	v_mul_f32_e64 v7, -v99, s6                                 // 00000000BB14: D1050007 20000D63
	v_exp_f32_e32 v4, v4                                       // 00000000BB1C: 7E084104
	v_exp_f32_e32 v5, v5                                       // 00000000BB20: 7E0A4105
	v_exp_f32_e32 v6, v6                                       // 00000000BB24: 7E0C4106
	v_exp_f32_e32 v7, v7                                       // 00000000BB28: 7E0E4107
	v_add_f32_e64 v4, v4, 1.0                                  // 00000000BB2C: D1010004 0001E504
	v_add_f32_e64 v5, v5, 1.0                                  // 00000000BB34: D1010005 0001E505
	v_add_f32_e64 v6, v6, 1.0                                  // 00000000BB3C: D1010006 0001E506
	v_add_f32_e64 v7, v7, 1.0                                  // 00000000BB44: D1010007 0001E507
	v_rcp_f32_e32 v4, v4                                       // 00000000BB4C: 7E084504
	v_rcp_f32_e32 v5, v5                                       // 00000000BB50: 7E0A4505
	v_rcp_f32_e32 v6, v6                                       // 00000000BB54: 7E0C4506
	v_rcp_f32_e32 v7, v7                                       // 00000000BB58: 7E0E4507
	v_mul_f32_e32 v96, v96, v4                                 // 00000000BB5C: 0AC00960
	v_mul_f32_e32 v97, v97, v5                                 // 00000000BB60: 0AC20B61
	v_mul_f32_e32 v98, v98, v6                                 // 00000000BB64: 0AC40D62
	v_mul_f32_e32 v99, v99, v7                                 // 00000000BB68: 0AC60F63
	v_mul_f32_e32 v96, v96, v144                               // 00000000BB6C: 0AC12160
	v_mul_f32_e32 v97, v97, v145                               // 00000000BB70: 0AC32361
	v_mul_f32_e32 v98, v98, v146                               // 00000000BB74: 0AC52562
	v_mul_f32_e32 v99, v99, v147                               // 00000000BB78: 0AC72763
	v_mul_f32_e64 v4, -v100, s6                                // 00000000BB7C: D1050004 20000D64
	v_mul_f32_e64 v5, -v101, s6                                // 00000000BB84: D1050005 20000D65
	v_mul_f32_e64 v6, -v102, s6                                // 00000000BB8C: D1050006 20000D66
	v_mul_f32_e64 v7, -v103, s6                                // 00000000BB94: D1050007 20000D67
	v_exp_f32_e32 v4, v4                                       // 00000000BB9C: 7E084104
	v_exp_f32_e32 v5, v5                                       // 00000000BBA0: 7E0A4105
	v_exp_f32_e32 v6, v6                                       // 00000000BBA4: 7E0C4106
	v_exp_f32_e32 v7, v7                                       // 00000000BBA8: 7E0E4107
	v_add_f32_e64 v4, v4, 1.0                                  // 00000000BBAC: D1010004 0001E504
	v_add_f32_e64 v5, v5, 1.0                                  // 00000000BBB4: D1010005 0001E505
	v_add_f32_e64 v6, v6, 1.0                                  // 00000000BBBC: D1010006 0001E506
	v_add_f32_e64 v7, v7, 1.0                                  // 00000000BBC4: D1010007 0001E507
	v_rcp_f32_e32 v4, v4                                       // 00000000BBCC: 7E084504
	v_rcp_f32_e32 v5, v5                                       // 00000000BBD0: 7E0A4505
	v_rcp_f32_e32 v6, v6                                       // 00000000BBD4: 7E0C4506
	v_rcp_f32_e32 v7, v7                                       // 00000000BBD8: 7E0E4507
	v_mul_f32_e32 v100, v100, v4                               // 00000000BBDC: 0AC80964
	v_mul_f32_e32 v101, v101, v5                               // 00000000BBE0: 0ACA0B65
	v_mul_f32_e32 v102, v102, v6                               // 00000000BBE4: 0ACC0D66
	v_mul_f32_e32 v103, v103, v7                               // 00000000BBE8: 0ACE0F67
	v_mul_f32_e32 v100, v100, v148                             // 00000000BBEC: 0AC92964
	v_mul_f32_e32 v101, v101, v149                             // 00000000BBF0: 0ACB2B65
	v_mul_f32_e32 v102, v102, v150                             // 00000000BBF4: 0ACD2D66
	v_mul_f32_e32 v103, v103, v151                             // 00000000BBF8: 0ACF2F67
	v_mul_f32_e64 v4, -v104, s6                                // 00000000BBFC: D1050004 20000D68
	v_mul_f32_e64 v5, -v105, s6                                // 00000000BC04: D1050005 20000D69
	v_mul_f32_e64 v6, -v106, s6                                // 00000000BC0C: D1050006 20000D6A
	v_mul_f32_e64 v7, -v107, s6                                // 00000000BC14: D1050007 20000D6B
	v_exp_f32_e32 v4, v4                                       // 00000000BC1C: 7E084104
	v_exp_f32_e32 v5, v5                                       // 00000000BC20: 7E0A4105
	v_exp_f32_e32 v6, v6                                       // 00000000BC24: 7E0C4106
	v_exp_f32_e32 v7, v7                                       // 00000000BC28: 7E0E4107
	v_add_f32_e64 v4, v4, 1.0                                  // 00000000BC2C: D1010004 0001E504
	v_add_f32_e64 v5, v5, 1.0                                  // 00000000BC34: D1010005 0001E505
	v_add_f32_e64 v6, v6, 1.0                                  // 00000000BC3C: D1010006 0001E506
	v_add_f32_e64 v7, v7, 1.0                                  // 00000000BC44: D1010007 0001E507
	v_rcp_f32_e32 v4, v4                                       // 00000000BC4C: 7E084504
	v_rcp_f32_e32 v5, v5                                       // 00000000BC50: 7E0A4505
	v_rcp_f32_e32 v6, v6                                       // 00000000BC54: 7E0C4506
	v_rcp_f32_e32 v7, v7                                       // 00000000BC58: 7E0E4507
	v_mul_f32_e32 v104, v104, v4                               // 00000000BC5C: 0AD00968
	v_mul_f32_e32 v105, v105, v5                               // 00000000BC60: 0AD20B69
	v_mul_f32_e32 v106, v106, v6                               // 00000000BC64: 0AD40D6A
	v_mul_f32_e32 v107, v107, v7                               // 00000000BC68: 0AD60F6B
	v_mul_f32_e32 v104, v104, v152                             // 00000000BC6C: 0AD13168
	v_mul_f32_e32 v105, v105, v153                             // 00000000BC70: 0AD33369
	v_mul_f32_e32 v106, v106, v154                             // 00000000BC74: 0AD5356A
	v_mul_f32_e32 v107, v107, v155                             // 00000000BC78: 0AD7376B
	v_mul_f32_e64 v4, -v108, s6                                // 00000000BC7C: D1050004 20000D6C
	v_mul_f32_e64 v5, -v109, s6                                // 00000000BC84: D1050005 20000D6D
	v_mul_f32_e64 v6, -v110, s6                                // 00000000BC8C: D1050006 20000D6E
	v_mul_f32_e64 v7, -v111, s6                                // 00000000BC94: D1050007 20000D6F
	v_exp_f32_e32 v4, v4                                       // 00000000BC9C: 7E084104
	v_exp_f32_e32 v5, v5                                       // 00000000BCA0: 7E0A4105
	v_exp_f32_e32 v6, v6                                       // 00000000BCA4: 7E0C4106
	v_exp_f32_e32 v7, v7                                       // 00000000BCA8: 7E0E4107
	v_add_f32_e64 v4, v4, 1.0                                  // 00000000BCAC: D1010004 0001E504
	v_add_f32_e64 v5, v5, 1.0                                  // 00000000BCB4: D1010005 0001E505
	v_add_f32_e64 v6, v6, 1.0                                  // 00000000BCBC: D1010006 0001E506
	v_add_f32_e64 v7, v7, 1.0                                  // 00000000BCC4: D1010007 0001E507
	v_rcp_f32_e32 v4, v4                                       // 00000000BCCC: 7E084504
	v_rcp_f32_e32 v5, v5                                       // 00000000BCD0: 7E0A4505
	v_rcp_f32_e32 v6, v6                                       // 00000000BCD4: 7E0C4506
	v_rcp_f32_e32 v7, v7                                       // 00000000BCD8: 7E0E4507
	v_mul_f32_e32 v108, v108, v4                               // 00000000BCDC: 0AD8096C
	v_mul_f32_e32 v109, v109, v5                               // 00000000BCE0: 0ADA0B6D
	v_mul_f32_e32 v110, v110, v6                               // 00000000BCE4: 0ADC0D6E
	v_mul_f32_e32 v111, v111, v7                               // 00000000BCE8: 0ADE0F6F
	v_mul_f32_e32 v108, v108, v156                             // 00000000BCEC: 0AD9396C
	v_mul_f32_e32 v109, v109, v157                             // 00000000BCF0: 0ADB3B6D
	v_mul_f32_e32 v110, v110, v158                             // 00000000BCF4: 0ADD3D6E
	v_mul_f32_e32 v111, v111, v159                             // 00000000BCF8: 0ADF3F6F
	v_mul_f32_e64 v4, -v112, s6                                // 00000000BCFC: D1050004 20000D70
	v_mul_f32_e64 v5, -v113, s6                                // 00000000BD04: D1050005 20000D71
	v_mul_f32_e64 v6, -v114, s6                                // 00000000BD0C: D1050006 20000D72
	v_mul_f32_e64 v7, -v115, s6                                // 00000000BD14: D1050007 20000D73
	v_exp_f32_e32 v4, v4                                       // 00000000BD1C: 7E084104
	v_exp_f32_e32 v5, v5                                       // 00000000BD20: 7E0A4105
	v_exp_f32_e32 v6, v6                                       // 00000000BD24: 7E0C4106
	v_exp_f32_e32 v7, v7                                       // 00000000BD28: 7E0E4107
	v_add_f32_e64 v4, v4, 1.0                                  // 00000000BD2C: D1010004 0001E504
	v_add_f32_e64 v5, v5, 1.0                                  // 00000000BD34: D1010005 0001E505
	v_add_f32_e64 v6, v6, 1.0                                  // 00000000BD3C: D1010006 0001E506
	v_add_f32_e64 v7, v7, 1.0                                  // 00000000BD44: D1010007 0001E507
	v_rcp_f32_e32 v4, v4                                       // 00000000BD4C: 7E084504
	v_rcp_f32_e32 v5, v5                                       // 00000000BD50: 7E0A4505
	v_rcp_f32_e32 v6, v6                                       // 00000000BD54: 7E0C4506
	v_rcp_f32_e32 v7, v7                                       // 00000000BD58: 7E0E4507
	v_mul_f32_e32 v112, v112, v4                               // 00000000BD5C: 0AE00970
	v_mul_f32_e32 v113, v113, v5                               // 00000000BD60: 0AE20B71
	v_mul_f32_e32 v114, v114, v6                               // 00000000BD64: 0AE40D72
	v_mul_f32_e32 v115, v115, v7                               // 00000000BD68: 0AE60F73
	v_mul_f32_e32 v112, v112, v160                             // 00000000BD6C: 0AE14170
	v_mul_f32_e32 v113, v113, v161                             // 00000000BD70: 0AE34371
	v_mul_f32_e32 v114, v114, v162                             // 00000000BD74: 0AE54572
	v_mul_f32_e32 v115, v115, v163                             // 00000000BD78: 0AE74773

000000000000bd7c <label_24E2>:
	v_cmp_u_f32_e64 s[46:47], v68, v68                         // 00000000BD7C: D048002E 00028944
	v_add3_u32 v16, v68, v19, 1                                // 00000000BD84: D1FF0010 02062744
	v_cndmask_b32_e64 v4, v16, v18, s[46:47]                   // 00000000BD8C: D1000004 00BA2510
	v_cmp_u_f32_e64 s[46:47], v69, v69                         // 00000000BD94: D048002E 00028B45
	v_add3_u32 v16, v69, v19, 1                                // 00000000BD9C: D1FF0010 02062745
	v_cndmask_b32_e64 v5, v16, v18, s[46:47]                   // 00000000BDA4: D1000005 00BA2510
	v_perm_b32 v68, v5, v4, s52                                // 00000000BDAC: D1ED0044 00D20905
	v_cmp_u_f32_e64 s[46:47], v70, v70                         // 00000000BDB4: D048002E 00028D46
	v_add3_u32 v16, v70, v19, 1                                // 00000000BDBC: D1FF0010 02062746
	v_cndmask_b32_e64 v4, v16, v18, s[46:47]                   // 00000000BDC4: D1000004 00BA2510
	v_cmp_u_f32_e64 s[46:47], v71, v71                         // 00000000BDCC: D048002E 00028F47
	v_add3_u32 v16, v71, v19, 1                                // 00000000BDD4: D1FF0010 02062747
	v_cndmask_b32_e64 v5, v16, v18, s[46:47]                   // 00000000BDDC: D1000005 00BA2510
	v_perm_b32 v69, v5, v4, s52                                // 00000000BDE4: D1ED0045 00D20905
	v_cmp_u_f32_e64 s[46:47], v72, v72                         // 00000000BDEC: D048002E 00029148
	v_add3_u32 v16, v72, v19, 1                                // 00000000BDF4: D1FF0010 02062748
	v_cndmask_b32_e64 v4, v16, v18, s[46:47]                   // 00000000BDFC: D1000004 00BA2510
	v_cmp_u_f32_e64 s[46:47], v73, v73                         // 00000000BE04: D048002E 00029349
	v_add3_u32 v16, v73, v19, 1                                // 00000000BE0C: D1FF0010 02062749
	v_cndmask_b32_e64 v5, v16, v18, s[46:47]                   // 00000000BE14: D1000005 00BA2510
	v_perm_b32 v70, v5, v4, s52                                // 00000000BE1C: D1ED0046 00D20905
	v_cmp_u_f32_e64 s[46:47], v74, v74                         // 00000000BE24: D048002E 0002954A
	v_add3_u32 v16, v74, v19, 1                                // 00000000BE2C: D1FF0010 0206274A
	v_cndmask_b32_e64 v4, v16, v18, s[46:47]                   // 00000000BE34: D1000004 00BA2510
	v_cmp_u_f32_e64 s[46:47], v75, v75                         // 00000000BE3C: D048002E 0002974B
	v_add3_u32 v16, v75, v19, 1                                // 00000000BE44: D1FF0010 0206274B
	v_cndmask_b32_e64 v5, v16, v18, s[46:47]                   // 00000000BE4C: D1000005 00BA2510
	v_perm_b32 v71, v5, v4, s52                                // 00000000BE54: D1ED0047 00D20905
	v_cmp_u_f32_e64 s[46:47], v76, v76                         // 00000000BE5C: D048002E 0002994C
	v_add3_u32 v16, v76, v19, 1                                // 00000000BE64: D1FF0010 0206274C
	v_cndmask_b32_e64 v4, v16, v18, s[46:47]                   // 00000000BE6C: D1000004 00BA2510
	v_cmp_u_f32_e64 s[46:47], v77, v77                         // 00000000BE74: D048002E 00029B4D
	v_add3_u32 v16, v77, v19, 1                                // 00000000BE7C: D1FF0010 0206274D
	v_cndmask_b32_e64 v5, v16, v18, s[46:47]                   // 00000000BE84: D1000005 00BA2510
	v_perm_b32 v72, v5, v4, s52                                // 00000000BE8C: D1ED0048 00D20905
	v_cmp_u_f32_e64 s[46:47], v78, v78                         // 00000000BE94: D048002E 00029D4E
	v_add3_u32 v16, v78, v19, 1                                // 00000000BE9C: D1FF0010 0206274E
	v_cndmask_b32_e64 v4, v16, v18, s[46:47]                   // 00000000BEA4: D1000004 00BA2510
	v_cmp_u_f32_e64 s[46:47], v79, v79                         // 00000000BEAC: D048002E 00029F4F
	v_add3_u32 v16, v79, v19, 1                                // 00000000BEB4: D1FF0010 0206274F
	v_cndmask_b32_e64 v5, v16, v18, s[46:47]                   // 00000000BEBC: D1000005 00BA2510
	v_perm_b32 v73, v5, v4, s52                                // 00000000BEC4: D1ED0049 00D20905
	v_cmp_u_f32_e64 s[46:47], v80, v80                         // 00000000BECC: D048002E 0002A150
	v_add3_u32 v16, v80, v19, 1                                // 00000000BED4: D1FF0010 02062750
	v_cndmask_b32_e64 v4, v16, v18, s[46:47]                   // 00000000BEDC: D1000004 00BA2510
	v_cmp_u_f32_e64 s[46:47], v81, v81                         // 00000000BEE4: D048002E 0002A351
	v_add3_u32 v16, v81, v19, 1                                // 00000000BEEC: D1FF0010 02062751
	v_cndmask_b32_e64 v5, v16, v18, s[46:47]                   // 00000000BEF4: D1000005 00BA2510
	v_perm_b32 v74, v5, v4, s52                                // 00000000BEFC: D1ED004A 00D20905
	v_cmp_u_f32_e64 s[46:47], v82, v82                         // 00000000BF04: D048002E 0002A552
	v_add3_u32 v16, v82, v19, 1                                // 00000000BF0C: D1FF0010 02062752
	v_cndmask_b32_e64 v4, v16, v18, s[46:47]                   // 00000000BF14: D1000004 00BA2510
	v_cmp_u_f32_e64 s[46:47], v83, v83                         // 00000000BF1C: D048002E 0002A753
	v_add3_u32 v16, v83, v19, 1                                // 00000000BF24: D1FF0010 02062753
	v_cndmask_b32_e64 v5, v16, v18, s[46:47]                   // 00000000BF2C: D1000005 00BA2510
	v_perm_b32 v75, v5, v4, s52                                // 00000000BF34: D1ED004B 00D20905
	v_cmp_u_f32_e64 s[46:47], v84, v84                         // 00000000BF3C: D048002E 0002A954
	v_add3_u32 v16, v84, v19, 1                                // 00000000BF44: D1FF0010 02062754
	v_cndmask_b32_e64 v4, v16, v18, s[46:47]                   // 00000000BF4C: D1000004 00BA2510
	v_cmp_u_f32_e64 s[46:47], v85, v85                         // 00000000BF54: D048002E 0002AB55
	v_add3_u32 v16, v85, v19, 1                                // 00000000BF5C: D1FF0010 02062755
	v_cndmask_b32_e64 v5, v16, v18, s[46:47]                   // 00000000BF64: D1000005 00BA2510
	v_perm_b32 v76, v5, v4, s52                                // 00000000BF6C: D1ED004C 00D20905
	v_cmp_u_f32_e64 s[46:47], v86, v86                         // 00000000BF74: D048002E 0002AD56
	v_add3_u32 v16, v86, v19, 1                                // 00000000BF7C: D1FF0010 02062756
	v_cndmask_b32_e64 v4, v16, v18, s[46:47]                   // 00000000BF84: D1000004 00BA2510
	v_cmp_u_f32_e64 s[46:47], v87, v87                         // 00000000BF8C: D048002E 0002AF57
	v_add3_u32 v16, v87, v19, 1                                // 00000000BF94: D1FF0010 02062757
	v_cndmask_b32_e64 v5, v16, v18, s[46:47]                   // 00000000BF9C: D1000005 00BA2510
	v_perm_b32 v77, v5, v4, s52                                // 00000000BFA4: D1ED004D 00D20905
	v_cmp_u_f32_e64 s[46:47], v88, v88                         // 00000000BFAC: D048002E 0002B158
	v_add3_u32 v16, v88, v19, 1                                // 00000000BFB4: D1FF0010 02062758
	v_cndmask_b32_e64 v4, v16, v18, s[46:47]                   // 00000000BFBC: D1000004 00BA2510
	v_cmp_u_f32_e64 s[46:47], v89, v89                         // 00000000BFC4: D048002E 0002B359
	v_add3_u32 v16, v89, v19, 1                                // 00000000BFCC: D1FF0010 02062759
	v_cndmask_b32_e64 v5, v16, v18, s[46:47]                   // 00000000BFD4: D1000005 00BA2510
	v_perm_b32 v78, v5, v4, s52                                // 00000000BFDC: D1ED004E 00D20905
	v_cmp_u_f32_e64 s[46:47], v90, v90                         // 00000000BFE4: D048002E 0002B55A
	v_add3_u32 v16, v90, v19, 1                                // 00000000BFEC: D1FF0010 0206275A
	v_cndmask_b32_e64 v4, v16, v18, s[46:47]                   // 00000000BFF4: D1000004 00BA2510
	v_cmp_u_f32_e64 s[46:47], v91, v91                         // 00000000BFFC: D048002E 0002B75B
	v_add3_u32 v16, v91, v19, 1                                // 00000000C004: D1FF0010 0206275B
	v_cndmask_b32_e64 v5, v16, v18, s[46:47]                   // 00000000C00C: D1000005 00BA2510
	v_perm_b32 v79, v5, v4, s52                                // 00000000C014: D1ED004F 00D20905
	v_cmp_u_f32_e64 s[46:47], v92, v92                         // 00000000C01C: D048002E 0002B95C
	v_add3_u32 v16, v92, v19, 1                                // 00000000C024: D1FF0010 0206275C
	v_cndmask_b32_e64 v4, v16, v18, s[46:47]                   // 00000000C02C: D1000004 00BA2510
	v_cmp_u_f32_e64 s[46:47], v93, v93                         // 00000000C034: D048002E 0002BB5D
	v_add3_u32 v16, v93, v19, 1                                // 00000000C03C: D1FF0010 0206275D
	v_cndmask_b32_e64 v5, v16, v18, s[46:47]                   // 00000000C044: D1000005 00BA2510
	v_perm_b32 v80, v5, v4, s52                                // 00000000C04C: D1ED0050 00D20905
	v_cmp_u_f32_e64 s[46:47], v94, v94                         // 00000000C054: D048002E 0002BD5E
	v_add3_u32 v16, v94, v19, 1                                // 00000000C05C: D1FF0010 0206275E
	v_cndmask_b32_e64 v4, v16, v18, s[46:47]                   // 00000000C064: D1000004 00BA2510
	v_cmp_u_f32_e64 s[46:47], v95, v95                         // 00000000C06C: D048002E 0002BF5F
	v_add3_u32 v16, v95, v19, 1                                // 00000000C074: D1FF0010 0206275F
	v_cndmask_b32_e64 v5, v16, v18, s[46:47]                   // 00000000C07C: D1000005 00BA2510
	v_perm_b32 v81, v5, v4, s52                                // 00000000C084: D1ED0051 00D20905
	v_cmp_u_f32_e64 s[46:47], v96, v96                         // 00000000C08C: D048002E 0002C160
	v_add3_u32 v16, v96, v19, 1                                // 00000000C094: D1FF0010 02062760
	v_cndmask_b32_e64 v4, v16, v18, s[46:47]                   // 00000000C09C: D1000004 00BA2510
	v_cmp_u_f32_e64 s[46:47], v97, v97                         // 00000000C0A4: D048002E 0002C361
	v_add3_u32 v16, v97, v19, 1                                // 00000000C0AC: D1FF0010 02062761
	v_cndmask_b32_e64 v5, v16, v18, s[46:47]                   // 00000000C0B4: D1000005 00BA2510
	v_perm_b32 v82, v5, v4, s52                                // 00000000C0BC: D1ED0052 00D20905
	v_cmp_u_f32_e64 s[46:47], v98, v98                         // 00000000C0C4: D048002E 0002C562
	v_add3_u32 v16, v98, v19, 1                                // 00000000C0CC: D1FF0010 02062762
	v_cndmask_b32_e64 v4, v16, v18, s[46:47]                   // 00000000C0D4: D1000004 00BA2510
	v_cmp_u_f32_e64 s[46:47], v99, v99                         // 00000000C0DC: D048002E 0002C763
	v_add3_u32 v16, v99, v19, 1                                // 00000000C0E4: D1FF0010 02062763
	v_cndmask_b32_e64 v5, v16, v18, s[46:47]                   // 00000000C0EC: D1000005 00BA2510
	v_perm_b32 v83, v5, v4, s52                                // 00000000C0F4: D1ED0053 00D20905
	v_cmp_u_f32_e64 s[46:47], v100, v100                       // 00000000C0FC: D048002E 0002C964
	v_add3_u32 v16, v100, v19, 1                               // 00000000C104: D1FF0010 02062764
	v_cndmask_b32_e64 v4, v16, v18, s[46:47]                   // 00000000C10C: D1000004 00BA2510
	v_cmp_u_f32_e64 s[46:47], v101, v101                       // 00000000C114: D048002E 0002CB65
	v_add3_u32 v16, v101, v19, 1                               // 00000000C11C: D1FF0010 02062765
	v_cndmask_b32_e64 v5, v16, v18, s[46:47]                   // 00000000C124: D1000005 00BA2510
	v_perm_b32 v84, v5, v4, s52                                // 00000000C12C: D1ED0054 00D20905
	v_cmp_u_f32_e64 s[46:47], v102, v102                       // 00000000C134: D048002E 0002CD66
	v_add3_u32 v16, v102, v19, 1                               // 00000000C13C: D1FF0010 02062766
	v_cndmask_b32_e64 v4, v16, v18, s[46:47]                   // 00000000C144: D1000004 00BA2510
	v_cmp_u_f32_e64 s[46:47], v103, v103                       // 00000000C14C: D048002E 0002CF67
	v_add3_u32 v16, v103, v19, 1                               // 00000000C154: D1FF0010 02062767
	v_cndmask_b32_e64 v5, v16, v18, s[46:47]                   // 00000000C15C: D1000005 00BA2510
	v_perm_b32 v85, v5, v4, s52                                // 00000000C164: D1ED0055 00D20905
	v_cmp_u_f32_e64 s[46:47], v104, v104                       // 00000000C16C: D048002E 0002D168
	v_add3_u32 v16, v104, v19, 1                               // 00000000C174: D1FF0010 02062768
	v_cndmask_b32_e64 v4, v16, v18, s[46:47]                   // 00000000C17C: D1000004 00BA2510
	v_cmp_u_f32_e64 s[46:47], v105, v105                       // 00000000C184: D048002E 0002D369
	v_add3_u32 v16, v105, v19, 1                               // 00000000C18C: D1FF0010 02062769
	v_cndmask_b32_e64 v5, v16, v18, s[46:47]                   // 00000000C194: D1000005 00BA2510
	v_perm_b32 v86, v5, v4, s52                                // 00000000C19C: D1ED0056 00D20905
	v_cmp_u_f32_e64 s[46:47], v106, v106                       // 00000000C1A4: D048002E 0002D56A
	v_add3_u32 v16, v106, v19, 1                               // 00000000C1AC: D1FF0010 0206276A
	v_cndmask_b32_e64 v4, v16, v18, s[46:47]                   // 00000000C1B4: D1000004 00BA2510
	v_cmp_u_f32_e64 s[46:47], v107, v107                       // 00000000C1BC: D048002E 0002D76B
	v_add3_u32 v16, v107, v19, 1                               // 00000000C1C4: D1FF0010 0206276B
	v_cndmask_b32_e64 v5, v16, v18, s[46:47]                   // 00000000C1CC: D1000005 00BA2510
	v_perm_b32 v87, v5, v4, s52                                // 00000000C1D4: D1ED0057 00D20905
	v_cmp_u_f32_e64 s[46:47], v108, v108                       // 00000000C1DC: D048002E 0002D96C
	v_add3_u32 v16, v108, v19, 1                               // 00000000C1E4: D1FF0010 0206276C
	v_cndmask_b32_e64 v4, v16, v18, s[46:47]                   // 00000000C1EC: D1000004 00BA2510
	v_cmp_u_f32_e64 s[46:47], v109, v109                       // 00000000C1F4: D048002E 0002DB6D
	v_add3_u32 v16, v109, v19, 1                               // 00000000C1FC: D1FF0010 0206276D
	v_cndmask_b32_e64 v5, v16, v18, s[46:47]                   // 00000000C204: D1000005 00BA2510
	v_perm_b32 v88, v5, v4, s52                                // 00000000C20C: D1ED0058 00D20905
	v_cmp_u_f32_e64 s[46:47], v110, v110                       // 00000000C214: D048002E 0002DD6E
	v_add3_u32 v16, v110, v19, 1                               // 00000000C21C: D1FF0010 0206276E
	v_cndmask_b32_e64 v4, v16, v18, s[46:47]                   // 00000000C224: D1000004 00BA2510
	v_cmp_u_f32_e64 s[46:47], v111, v111                       // 00000000C22C: D048002E 0002DF6F
	v_add3_u32 v16, v111, v19, 1                               // 00000000C234: D1FF0010 0206276F
	v_cndmask_b32_e64 v5, v16, v18, s[46:47]                   // 00000000C23C: D1000005 00BA2510
	v_perm_b32 v89, v5, v4, s52                                // 00000000C244: D1ED0059 00D20905
	v_cmp_u_f32_e64 s[46:47], v112, v112                       // 00000000C24C: D048002E 0002E170
	v_add3_u32 v16, v112, v19, 1                               // 00000000C254: D1FF0010 02062770
	v_cndmask_b32_e64 v4, v16, v18, s[46:47]                   // 00000000C25C: D1000004 00BA2510
	v_cmp_u_f32_e64 s[46:47], v113, v113                       // 00000000C264: D048002E 0002E371
	v_add3_u32 v16, v113, v19, 1                               // 00000000C26C: D1FF0010 02062771
	v_cndmask_b32_e64 v5, v16, v18, s[46:47]                   // 00000000C274: D1000005 00BA2510
	v_perm_b32 v90, v5, v4, s52                                // 00000000C27C: D1ED005A 00D20905
	v_cmp_u_f32_e64 s[46:47], v114, v114                       // 00000000C284: D048002E 0002E572
	v_add3_u32 v16, v114, v19, 1                               // 00000000C28C: D1FF0010 02062772
	v_cndmask_b32_e64 v4, v16, v18, s[46:47]                   // 00000000C294: D1000004 00BA2510
	v_cmp_u_f32_e64 s[46:47], v115, v115                       // 00000000C29C: D048002E 0002E773
	v_add3_u32 v16, v115, v19, 1                               // 00000000C2A4: D1FF0010 02062773
	v_cndmask_b32_e64 v5, v16, v18, s[46:47]                   // 00000000C2AC: D1000005 00BA2510
	v_perm_b32 v91, v5, v4, s52                                // 00000000C2B4: D1ED005B 00D20905
	ds_write_b64 v20, v[68:69]                                 // 00000000C2BC: D89A0000 00004414
	ds_write_b64 v20, v[70:71] offset:4352                     // 00000000C2C4: D89A1100 00004614
	ds_write_b64 v20, v[72:73] offset:8704                     // 00000000C2CC: D89A2200 00004814
	ds_write_b64 v20, v[74:75] offset:13056                    // 00000000C2D4: D89A3300 00004A14
	ds_write_b64 v20, v[76:77] offset:17408                    // 00000000C2DC: D89A4400 00004C14
	ds_write_b64 v20, v[78:79] offset:21760                    // 00000000C2E4: D89A5500 00004E14
	ds_write_b64 v20, v[80:81] offset:2176                     // 00000000C2EC: D89A0880 00005014
	ds_write_b64 v20, v[82:83] offset:6528                     // 00000000C2F4: D89A1980 00005214
	ds_write_b64 v20, v[84:85] offset:10880                    // 00000000C2FC: D89A2A80 00005414
	ds_write_b64 v20, v[86:87] offset:15232                    // 00000000C304: D89A3B80 00005614
	ds_write_b64 v20, v[88:89] offset:19584                    // 00000000C30C: D89A4C80 00005814
	ds_write_b64 v20, v[90:91] offset:23936                    // 00000000C314: D89A5D80 00005A14
	v_lshrrev_b32_e32 v4, 5, v0                                // 00000000C31C: 20080085
	v_xor_b32_e32 v5, 1, v4                                    // 00000000C320: 2A0A0881
	s_mul_i32 s60, s65, 2                                      // 00000000C324: 923C8241
	s_cmp_eq_u32 s88, 0                                        // 00000000C328: BF068058
	s_cselect_b32 s61, 1, 4                                    // 00000000C32C: 853D8481
	s_mul_i32 s60, s61, s60                                    // 00000000C330: 923C3C3D
	v_readlane_b32 s82, v3, 0                                  // 00000000C334: D2890052 00010103
	s_lshr_b32 s61, s82, 24                                    // 00000000C33C: 8F3D9852
	s_and_b32 s82, s82, 0xffffff                               // 00000000C340: 8652FF52 00FFFFFF
	s_mul_i32 s82, s82, s71                                    // 00000000C348: 92524752
	s_mul_i32 s61, s60, s61                                    // 00000000C34C: 923D3D3C
	s_add_u32 s82, s82, s61                                    // 00000000C350: 80523D52
	v_mul_lo_u32 v6, v5, s82                                   // 00000000C354: D2850006 0000A505
	v_readlane_b32 s82, v3, 1                                  // 00000000C35C: D2890052 00010303
	s_lshr_b32 s61, s82, 24                                    // 00000000C364: 8F3D9852
	s_and_b32 s82, s82, 0xffffff                               // 00000000C368: 8652FF52 00FFFFFF
	s_mul_i32 s82, s82, s71                                    // 00000000C370: 92524752
	s_mul_i32 s61, s60, s61                                    // 00000000C374: 923D3D3C
	s_add_u32 s82, s82, s61                                    // 00000000C378: 80523D52
	v_mul_lo_u32 v7, v4, s82                                   // 00000000C37C: D2850007 0000A504
	v_add_u32_e32 v54, v6, v7                                  // 00000000C384: 686C0F06
	v_readlane_b32 s82, v3, 2                                  // 00000000C388: D2890052 00010503
	s_lshr_b32 s61, s82, 24                                    // 00000000C390: 8F3D9852
	s_and_b32 s82, s82, 0xffffff                               // 00000000C394: 8652FF52 00FFFFFF
	s_mul_i32 s82, s82, s71                                    // 00000000C39C: 92524752
	s_mul_i32 s61, s60, s61                                    // 00000000C3A0: 923D3D3C
	s_add_u32 s82, s82, s61                                    // 00000000C3A4: 80523D52
	v_mul_lo_u32 v6, v5, s82                                   // 00000000C3A8: D2850006 0000A505
	v_readlane_b32 s82, v3, 3                                  // 00000000C3B0: D2890052 00010703
	s_lshr_b32 s61, s82, 24                                    // 00000000C3B8: 8F3D9852
	s_and_b32 s82, s82, 0xffffff                               // 00000000C3BC: 8652FF52 00FFFFFF
	s_mul_i32 s82, s82, s71                                    // 00000000C3C4: 92524752
	s_mul_i32 s61, s60, s61                                    // 00000000C3C8: 923D3D3C
	s_add_u32 s82, s82, s61                                    // 00000000C3CC: 80523D52
	v_mul_lo_u32 v7, v4, s82                                   // 00000000C3D0: D2850007 0000A504
	v_add_u32_e32 v55, v6, v7                                  // 00000000C3D8: 686E0F06
	v_readlane_b32 s82, v3, 4                                  // 00000000C3DC: D2890052 00010903
	s_lshr_b32 s61, s82, 24                                    // 00000000C3E4: 8F3D9852
	s_and_b32 s82, s82, 0xffffff                               // 00000000C3E8: 8652FF52 00FFFFFF
	s_mul_i32 s82, s82, s71                                    // 00000000C3F0: 92524752
	s_mul_i32 s61, s60, s61                                    // 00000000C3F4: 923D3D3C
	s_add_u32 s82, s82, s61                                    // 00000000C3F8: 80523D52
	v_mul_lo_u32 v6, v5, s82                                   // 00000000C3FC: D2850006 0000A505
	v_readlane_b32 s82, v3, 5                                  // 00000000C404: D2890052 00010B03
	s_lshr_b32 s61, s82, 24                                    // 00000000C40C: 8F3D9852
	s_and_b32 s82, s82, 0xffffff                               // 00000000C410: 8652FF52 00FFFFFF
	s_mul_i32 s82, s82, s71                                    // 00000000C418: 92524752
	s_mul_i32 s61, s60, s61                                    // 00000000C41C: 923D3D3C
	s_add_u32 s82, s82, s61                                    // 00000000C420: 80523D52
	v_mul_lo_u32 v7, v4, s82                                   // 00000000C424: D2850007 0000A504
	v_add_u32_e32 v56, v6, v7                                  // 00000000C42C: 68700F06
	v_readlane_b32 s82, v3, 6                                  // 00000000C430: D2890052 00010D03
	s_lshr_b32 s61, s82, 24                                    // 00000000C438: 8F3D9852
	s_and_b32 s82, s82, 0xffffff                               // 00000000C43C: 8652FF52 00FFFFFF
	s_mul_i32 s82, s82, s71                                    // 00000000C444: 92524752
	s_mul_i32 s61, s60, s61                                    // 00000000C448: 923D3D3C
	s_add_u32 s82, s82, s61                                    // 00000000C44C: 80523D52
	v_mul_lo_u32 v6, v5, s82                                   // 00000000C450: D2850006 0000A505
	v_readlane_b32 s82, v3, 7                                  // 00000000C458: D2890052 00010F03
	s_lshr_b32 s61, s82, 24                                    // 00000000C460: 8F3D9852
	s_and_b32 s82, s82, 0xffffff                               // 00000000C464: 8652FF52 00FFFFFF
	s_mul_i32 s82, s82, s71                                    // 00000000C46C: 92524752
	s_mul_i32 s61, s60, s61                                    // 00000000C470: 923D3D3C
	s_add_u32 s82, s82, s61                                    // 00000000C474: 80523D52
	v_mul_lo_u32 v7, v4, s82                                   // 00000000C478: D2850007 0000A504
	v_add_u32_e32 v57, v6, v7                                  // 00000000C480: 68720F06
	v_readlane_b32 s82, v3, 8                                  // 00000000C484: D2890052 00011103
	s_lshr_b32 s61, s82, 24                                    // 00000000C48C: 8F3D9852
	s_and_b32 s82, s82, 0xffffff                               // 00000000C490: 8652FF52 00FFFFFF
	s_mul_i32 s82, s82, s71                                    // 00000000C498: 92524752
	s_mul_i32 s61, s60, s61                                    // 00000000C49C: 923D3D3C
	s_add_u32 s82, s82, s61                                    // 00000000C4A0: 80523D52
	v_mul_lo_u32 v6, v5, s82                                   // 00000000C4A4: D2850006 0000A505
	v_readlane_b32 s82, v3, 9                                  // 00000000C4AC: D2890052 00011303
	s_lshr_b32 s61, s82, 24                                    // 00000000C4B4: 8F3D9852
	s_and_b32 s82, s82, 0xffffff                               // 00000000C4B8: 8652FF52 00FFFFFF
	s_mul_i32 s82, s82, s71                                    // 00000000C4C0: 92524752
	s_mul_i32 s61, s60, s61                                    // 00000000C4C4: 923D3D3C
	s_add_u32 s82, s82, s61                                    // 00000000C4C8: 80523D52
	v_mul_lo_u32 v7, v4, s82                                   // 00000000C4CC: D2850007 0000A504
	v_add_u32_e32 v58, v6, v7                                  // 00000000C4D4: 68740F06
	v_readlane_b32 s82, v3, 10                                 // 00000000C4D8: D2890052 00011503
	s_lshr_b32 s61, s82, 24                                    // 00000000C4E0: 8F3D9852
	s_and_b32 s82, s82, 0xffffff                               // 00000000C4E4: 8652FF52 00FFFFFF
	s_mul_i32 s82, s82, s71                                    // 00000000C4EC: 92524752
	s_mul_i32 s61, s60, s61                                    // 00000000C4F0: 923D3D3C
	s_add_u32 s82, s82, s61                                    // 00000000C4F4: 80523D52
	v_mul_lo_u32 v6, v5, s82                                   // 00000000C4F8: D2850006 0000A505
	v_readlane_b32 s82, v3, 11                                 // 00000000C500: D2890052 00011703
	s_lshr_b32 s61, s82, 24                                    // 00000000C508: 8F3D9852
	s_and_b32 s82, s82, 0xffffff                               // 00000000C50C: 8652FF52 00FFFFFF
	s_mul_i32 s82, s82, s71                                    // 00000000C514: 92524752
	s_mul_i32 s61, s60, s61                                    // 00000000C518: 923D3D3C
	s_add_u32 s82, s82, s61                                    // 00000000C51C: 80523D52
	v_mul_lo_u32 v7, v4, s82                                   // 00000000C520: D2850007 0000A504
	v_add_u32_e32 v59, v6, v7                                  // 00000000C528: 68760F06
	v_readlane_b32 s82, v3, 12                                 // 00000000C52C: D2890052 00011903
	s_lshr_b32 s61, s82, 24                                    // 00000000C534: 8F3D9852
	s_and_b32 s82, s82, 0xffffff                               // 00000000C538: 8652FF52 00FFFFFF
	s_mul_i32 s82, s82, s71                                    // 00000000C540: 92524752
	s_mul_i32 s61, s60, s61                                    // 00000000C544: 923D3D3C
	s_add_u32 s82, s82, s61                                    // 00000000C548: 80523D52
	v_mul_lo_u32 v6, v5, s82                                   // 00000000C54C: D2850006 0000A505
	v_readlane_b32 s82, v3, 13                                 // 00000000C554: D2890052 00011B03
	s_lshr_b32 s61, s82, 24                                    // 00000000C55C: 8F3D9852
	s_and_b32 s82, s82, 0xffffff                               // 00000000C560: 8652FF52 00FFFFFF
	s_mul_i32 s82, s82, s71                                    // 00000000C568: 92524752
	s_mul_i32 s61, s60, s61                                    // 00000000C56C: 923D3D3C
	s_add_u32 s82, s82, s61                                    // 00000000C570: 80523D52
	v_mul_lo_u32 v7, v4, s82                                   // 00000000C574: D2850007 0000A504
	v_add_u32_e32 v60, v6, v7                                  // 00000000C57C: 68780F06
	v_readlane_b32 s82, v3, 14                                 // 00000000C580: D2890052 00011D03
	s_lshr_b32 s61, s82, 24                                    // 00000000C588: 8F3D9852
	s_and_b32 s82, s82, 0xffffff                               // 00000000C58C: 8652FF52 00FFFFFF
	s_mul_i32 s82, s82, s71                                    // 00000000C594: 92524752
	s_mul_i32 s61, s60, s61                                    // 00000000C598: 923D3D3C
	s_add_u32 s82, s82, s61                                    // 00000000C59C: 80523D52
	v_mul_lo_u32 v6, v5, s82                                   // 00000000C5A0: D2850006 0000A505
	v_readlane_b32 s82, v3, 15                                 // 00000000C5A8: D2890052 00011F03
	s_lshr_b32 s61, s82, 24                                    // 00000000C5B0: 8F3D9852
	s_and_b32 s82, s82, 0xffffff                               // 00000000C5B4: 8652FF52 00FFFFFF
	s_mul_i32 s82, s82, s71                                    // 00000000C5BC: 92524752
	s_mul_i32 s61, s60, s61                                    // 00000000C5C0: 923D3D3C
	s_add_u32 s82, s82, s61                                    // 00000000C5C4: 80523D52
	v_mul_lo_u32 v7, v4, s82                                   // 00000000C5C8: D2850007 0000A504
	v_add_u32_e32 v61, v6, v7                                  // 00000000C5D0: 687A0F06
	v_readlane_b32 s82, v3, 16                                 // 00000000C5D4: D2890052 00012103
	s_lshr_b32 s61, s82, 24                                    // 00000000C5DC: 8F3D9852
	s_and_b32 s82, s82, 0xffffff                               // 00000000C5E0: 8652FF52 00FFFFFF
	s_mul_i32 s82, s82, s71                                    // 00000000C5E8: 92524752
	s_mul_i32 s61, s60, s61                                    // 00000000C5EC: 923D3D3C
	s_add_u32 s82, s82, s61                                    // 00000000C5F0: 80523D52
	v_mul_lo_u32 v6, v5, s82                                   // 00000000C5F4: D2850006 0000A505
	v_readlane_b32 s82, v3, 17                                 // 00000000C5FC: D2890052 00012303
	s_lshr_b32 s61, s82, 24                                    // 00000000C604: 8F3D9852
	s_and_b32 s82, s82, 0xffffff                               // 00000000C608: 8652FF52 00FFFFFF
	s_mul_i32 s82, s82, s71                                    // 00000000C610: 92524752
	s_mul_i32 s61, s60, s61                                    // 00000000C614: 923D3D3C
	s_add_u32 s82, s82, s61                                    // 00000000C618: 80523D52
	v_mul_lo_u32 v7, v4, s82                                   // 00000000C61C: D2850007 0000A504
	v_add_u32_e32 v62, v6, v7                                  // 00000000C624: 687C0F06
	v_readlane_b32 s82, v3, 18                                 // 00000000C628: D2890052 00012503
	s_lshr_b32 s61, s82, 24                                    // 00000000C630: 8F3D9852
	s_and_b32 s82, s82, 0xffffff                               // 00000000C634: 8652FF52 00FFFFFF
	s_mul_i32 s82, s82, s71                                    // 00000000C63C: 92524752
	s_mul_i32 s61, s60, s61                                    // 00000000C640: 923D3D3C
	s_add_u32 s82, s82, s61                                    // 00000000C644: 80523D52
	v_mul_lo_u32 v6, v5, s82                                   // 00000000C648: D2850006 0000A505
	v_readlane_b32 s82, v3, 19                                 // 00000000C650: D2890052 00012703
	s_lshr_b32 s61, s82, 24                                    // 00000000C658: 8F3D9852
	s_and_b32 s82, s82, 0xffffff                               // 00000000C65C: 8652FF52 00FFFFFF
	s_mul_i32 s82, s82, s71                                    // 00000000C664: 92524752
	s_mul_i32 s61, s60, s61                                    // 00000000C668: 923D3D3C
	s_add_u32 s82, s82, s61                                    // 00000000C66C: 80523D52
	v_mul_lo_u32 v7, v4, s82                                   // 00000000C670: D2850007 0000A504
	v_add_u32_e32 v63, v6, v7                                  // 00000000C678: 687E0F06
	v_readlane_b32 s82, v3, 20                                 // 00000000C67C: D2890052 00012903
	s_lshr_b32 s61, s82, 24                                    // 00000000C684: 8F3D9852
	s_and_b32 s82, s82, 0xffffff                               // 00000000C688: 8652FF52 00FFFFFF
	s_mul_i32 s82, s82, s71                                    // 00000000C690: 92524752
	s_mul_i32 s61, s60, s61                                    // 00000000C694: 923D3D3C
	s_add_u32 s82, s82, s61                                    // 00000000C698: 80523D52
	v_mul_lo_u32 v6, v5, s82                                   // 00000000C69C: D2850006 0000A505
	v_readlane_b32 s82, v3, 21                                 // 00000000C6A4: D2890052 00012B03
	s_lshr_b32 s61, s82, 24                                    // 00000000C6AC: 8F3D9852
	s_and_b32 s82, s82, 0xffffff                               // 00000000C6B0: 8652FF52 00FFFFFF
	s_mul_i32 s82, s82, s71                                    // 00000000C6B8: 92524752
	s_mul_i32 s61, s60, s61                                    // 00000000C6BC: 923D3D3C
	s_add_u32 s82, s82, s61                                    // 00000000C6C0: 80523D52
	v_mul_lo_u32 v7, v4, s82                                   // 00000000C6C4: D2850007 0000A504
	v_add_u32_e32 v64, v6, v7                                  // 00000000C6CC: 68800F06
	v_readlane_b32 s82, v3, 22                                 // 00000000C6D0: D2890052 00012D03
	s_lshr_b32 s61, s82, 24                                    // 00000000C6D8: 8F3D9852
	s_and_b32 s82, s82, 0xffffff                               // 00000000C6DC: 8652FF52 00FFFFFF
	s_mul_i32 s82, s82, s71                                    // 00000000C6E4: 92524752
	s_mul_i32 s61, s60, s61                                    // 00000000C6E8: 923D3D3C
	s_add_u32 s82, s82, s61                                    // 00000000C6EC: 80523D52
	v_mul_lo_u32 v6, v5, s82                                   // 00000000C6F0: D2850006 0000A505
	v_readlane_b32 s82, v3, 23                                 // 00000000C6F8: D2890052 00012F03
	s_lshr_b32 s61, s82, 24                                    // 00000000C700: 8F3D9852
	s_and_b32 s82, s82, 0xffffff                               // 00000000C704: 8652FF52 00FFFFFF
	s_mul_i32 s82, s82, s71                                    // 00000000C70C: 92524752
	s_mul_i32 s61, s60, s61                                    // 00000000C710: 923D3D3C
	s_add_u32 s82, s82, s61                                    // 00000000C714: 80523D52
	v_mul_lo_u32 v7, v4, s82                                   // 00000000C718: D2850007 0000A504
	v_add_u32_e32 v65, v6, v7                                  // 00000000C720: 68820F06
	v_and_b32_e32 v4, 31, v0                                   // 00000000C724: 2608009F
	v_lshrrev_b32_e32 v4, 1, v4                                // 00000000C728: 20080881
	s_cmp_eq_u32 s88, 0                                        // 00000000C72C: BF068058
	s_cselect_b32 s61, 2, 4                                    // 00000000C730: 853D8482
	v_mul_lo_u32 v4, v4, s61                                   // 00000000C734: D2850004 00007B04
	v_and_b32_e64 v5, v0, 1                                    // 00000000C73C: D1130005 00010300
	v_add_u32_e32 v4, v4, v5                                   // 00000000C744: 68080B04
	v_lshlrev_b32_e32 v4, 2, v4                                // 00000000C748: 24080882
	v_add_u32_e32 v54, v54, v4                                 // 00000000C74C: 686C0936
	v_add_u32_e32 v55, v55, v4                                 // 00000000C750: 686E0937
	v_add_u32_e32 v56, v56, v4                                 // 00000000C754: 68700938
	v_add_u32_e32 v57, v57, v4                                 // 00000000C758: 68720939
	v_add_u32_e32 v58, v58, v4                                 // 00000000C75C: 6874093A
	v_add_u32_e32 v59, v59, v4                                 // 00000000C760: 6876093B
	v_add_u32_e32 v60, v60, v4                                 // 00000000C764: 6878093C
	v_add_u32_e32 v61, v61, v4                                 // 00000000C768: 687A093D
	v_add_u32_e32 v62, v62, v4                                 // 00000000C76C: 687C093E
	v_add_u32_e32 v63, v63, v4                                 // 00000000C770: 687E093F
	v_add_u32_e32 v64, v64, v4                                 // 00000000C774: 68800940
	v_add_u32_e32 v65, v65, v4                                 // 00000000C778: 68820941
	s_waitcnt lgkmcnt(0)                                       // 00000000C77C: BF8CC07F
	s_barrier                                                  // 00000000C780: BF8A0000
	ds_read_b32 v68, v21                                       // 00000000C784: D86C0000 44000015
	ds_read_b32 v69, v21 offset:64                             // 00000000C78C: D86C0040 45000015
	ds_read_b32 v70, v21 offset:2176                           // 00000000C794: D86C0880 46000015
	ds_read_b32 v71, v21 offset:2240                           // 00000000C79C: D86C08C0 47000015
	ds_read_b32 v72, v21 offset:4352                           // 00000000C7A4: D86C1100 48000015
	ds_read_b32 v73, v21 offset:4416                           // 00000000C7AC: D86C1140 49000015
	ds_read_b32 v74, v21 offset:6528                           // 00000000C7B4: D86C1980 4A000015
	ds_read_b32 v75, v21 offset:6592                           // 00000000C7BC: D86C19C0 4B000015
	ds_read_b32 v76, v21 offset:8704                           // 00000000C7C4: D86C2200 4C000015
	ds_read_b32 v77, v21 offset:8768                           // 00000000C7CC: D86C2240 4D000015
	ds_read_b32 v78, v21 offset:10880                          // 00000000C7D4: D86C2A80 4E000015
	ds_read_b32 v79, v21 offset:10944                          // 00000000C7DC: D86C2AC0 4F000015
	ds_read_b32 v80, v21 offset:13056                          // 00000000C7E4: D86C3300 50000015
	ds_read_b32 v81, v21 offset:13120                          // 00000000C7EC: D86C3340 51000015
	ds_read_b32 v82, v21 offset:15232                          // 00000000C7F4: D86C3B80 52000015
	ds_read_b32 v83, v21 offset:15296                          // 00000000C7FC: D86C3BC0 53000015
	ds_read_b32 v84, v21 offset:17408                          // 00000000C804: D86C4400 54000015
	ds_read_b32 v85, v21 offset:17472                          // 00000000C80C: D86C4440 55000015
	ds_read_b32 v86, v21 offset:19584                          // 00000000C814: D86C4C80 56000015
	ds_read_b32 v87, v21 offset:19648                          // 00000000C81C: D86C4CC0 57000015
	ds_read_b32 v88, v21 offset:21760                          // 00000000C824: D86C5500 58000015
	ds_read_b32 v89, v21 offset:21824                          // 00000000C82C: D86C5540 59000015
	ds_read_b32 v90, v21 offset:23936                          // 00000000C834: D86C5D80 5A000015
	ds_read_b32 v91, v21 offset:24000                          // 00000000C83C: D86C5DC0 5B000015
	s_waitcnt lgkmcnt(0)                                       // 00000000C844: BF8CC07F
	s_mov_b32 s36, -1                                          // 00000000C848: BEA400C1
	s_mov_b32 s37, -1                                          // 00000000C84C: BEA500C1
	v_mov_b32_e32 v7, 0                                        // 00000000C850: 7E0E0280
	s_or_b32 s9, s9, 0x40000                                   // 00000000C854: 8709FF09 00040000
	s_mov_b64 exec, s[36:37]                                   // 00000000C85C: BEFE0124
	v_mov_b32_e32 v6, v54                                      // 00000000C860: 7E0C0336
	s_mov_b64 s[60:61], 0                                      // 00000000C864: BEBC0180
	v_readlane_b32 s82, v3, 0                                  // 00000000C868: D2890052 00010103
	s_and_b32 s82, s82, 0xffffff                               // 00000000C870: 8652FF52 00FFFFFF
	s_cmp_lt_u32 s82, s66                                      // 00000000C878: BF0A4252
	s_cselect_b32 s20, s36, s60                                // 00000000C87C: 85143C24
	v_readlane_b32 s82, v3, 1                                  // 00000000C880: D2890052 00010303
	s_and_b32 s82, s82, 0xffffff                               // 00000000C888: 8652FF52 00FFFFFF
	s_cmp_lt_u32 s82, s66                                      // 00000000C890: BF0A4252
	s_cselect_b32 s21, s36, s60                                // 00000000C894: 85153C24
	s_mov_b64 exec, s[20:21]                                   // 00000000C898: BEFE0114
	buffer_store_dword v68, v6, s[8:11], 0 offen               // 00000000C89C: E0701000 80024406
	buffer_store_dword v70, v6, s[8:11], 0 offen offset:128    // 00000000C8A4: E0701080 80024606
	s_mov_b64 exec, s[36:37]                                   // 00000000C8AC: BEFE0124
	v_mov_b32_e32 v6, v55                                      // 00000000C8B0: 7E0C0337
	s_mov_b64 s[60:61], 0                                      // 00000000C8B4: BEBC0180
	v_readlane_b32 s82, v3, 2                                  // 00000000C8B8: D2890052 00010503
	s_and_b32 s82, s82, 0xffffff                               // 00000000C8C0: 8652FF52 00FFFFFF
	s_cmp_lt_u32 s82, s66                                      // 00000000C8C8: BF0A4252
	s_cselect_b32 s20, s36, s60                                // 00000000C8CC: 85143C24
	v_readlane_b32 s82, v3, 3                                  // 00000000C8D0: D2890052 00010703
	s_and_b32 s82, s82, 0xffffff                               // 00000000C8D8: 8652FF52 00FFFFFF
	s_cmp_lt_u32 s82, s66                                      // 00000000C8E0: BF0A4252
	s_cselect_b32 s21, s36, s60                                // 00000000C8E4: 85153C24
	s_mov_b64 exec, s[20:21]                                   // 00000000C8E8: BEFE0114
	buffer_store_dword v69, v6, s[8:11], 0 offen               // 00000000C8EC: E0701000 80024506
	buffer_store_dword v71, v6, s[8:11], 0 offen offset:128    // 00000000C8F4: E0701080 80024706
	s_mov_b64 exec, s[36:37]                                   // 00000000C8FC: BEFE0124
	v_mov_b32_e32 v6, v56                                      // 00000000C900: 7E0C0338
	s_mov_b64 s[60:61], 0                                      // 00000000C904: BEBC0180
	v_readlane_b32 s82, v3, 4                                  // 00000000C908: D2890052 00010903
	s_and_b32 s82, s82, 0xffffff                               // 00000000C910: 8652FF52 00FFFFFF
	s_cmp_lt_u32 s82, s66                                      // 00000000C918: BF0A4252
	s_cselect_b32 s20, s36, s60                                // 00000000C91C: 85143C24
	v_readlane_b32 s82, v3, 5                                  // 00000000C920: D2890052 00010B03
	s_and_b32 s82, s82, 0xffffff                               // 00000000C928: 8652FF52 00FFFFFF
	s_cmp_lt_u32 s82, s66                                      // 00000000C930: BF0A4252
	s_cselect_b32 s21, s36, s60                                // 00000000C934: 85153C24
	s_mov_b64 exec, s[20:21]                                   // 00000000C938: BEFE0114
	buffer_store_dword v72, v6, s[8:11], 0 offen               // 00000000C93C: E0701000 80024806
	buffer_store_dword v74, v6, s[8:11], 0 offen offset:128    // 00000000C944: E0701080 80024A06
	s_mov_b64 exec, s[36:37]                                   // 00000000C94C: BEFE0124
	v_mov_b32_e32 v6, v57                                      // 00000000C950: 7E0C0339
	s_mov_b64 s[60:61], 0                                      // 00000000C954: BEBC0180
	v_readlane_b32 s82, v3, 6                                  // 00000000C958: D2890052 00010D03
	s_and_b32 s82, s82, 0xffffff                               // 00000000C960: 8652FF52 00FFFFFF
	s_cmp_lt_u32 s82, s66                                      // 00000000C968: BF0A4252
	s_cselect_b32 s20, s36, s60                                // 00000000C96C: 85143C24
	v_readlane_b32 s82, v3, 7                                  // 00000000C970: D2890052 00010F03
	s_and_b32 s82, s82, 0xffffff                               // 00000000C978: 8652FF52 00FFFFFF
	s_cmp_lt_u32 s82, s66                                      // 00000000C980: BF0A4252
	s_cselect_b32 s21, s36, s60                                // 00000000C984: 85153C24
	s_mov_b64 exec, s[20:21]                                   // 00000000C988: BEFE0114
	buffer_store_dword v73, v6, s[8:11], 0 offen               // 00000000C98C: E0701000 80024906
	buffer_store_dword v75, v6, s[8:11], 0 offen offset:128    // 00000000C994: E0701080 80024B06
	s_mov_b64 exec, s[36:37]                                   // 00000000C99C: BEFE0124
	v_mov_b32_e32 v6, v58                                      // 00000000C9A0: 7E0C033A
	s_mov_b64 s[60:61], 0                                      // 00000000C9A4: BEBC0180
	v_readlane_b32 s82, v3, 8                                  // 00000000C9A8: D2890052 00011103
	s_and_b32 s82, s82, 0xffffff                               // 00000000C9B0: 8652FF52 00FFFFFF
	s_cmp_lt_u32 s82, s66                                      // 00000000C9B8: BF0A4252
	s_cselect_b32 s20, s36, s60                                // 00000000C9BC: 85143C24
	v_readlane_b32 s82, v3, 9                                  // 00000000C9C0: D2890052 00011303
	s_and_b32 s82, s82, 0xffffff                               // 00000000C9C8: 8652FF52 00FFFFFF
	s_cmp_lt_u32 s82, s66                                      // 00000000C9D0: BF0A4252
	s_cselect_b32 s21, s36, s60                                // 00000000C9D4: 85153C24
	s_mov_b64 exec, s[20:21]                                   // 00000000C9D8: BEFE0114
	buffer_store_dword v76, v6, s[8:11], 0 offen               // 00000000C9DC: E0701000 80024C06
	buffer_store_dword v78, v6, s[8:11], 0 offen offset:128    // 00000000C9E4: E0701080 80024E06
	s_mov_b64 exec, s[36:37]                                   // 00000000C9EC: BEFE0124
	v_mov_b32_e32 v6, v59                                      // 00000000C9F0: 7E0C033B
	s_mov_b64 s[60:61], 0                                      // 00000000C9F4: BEBC0180
	v_readlane_b32 s82, v3, 10                                 // 00000000C9F8: D2890052 00011503
	s_and_b32 s82, s82, 0xffffff                               // 00000000CA00: 8652FF52 00FFFFFF
	s_cmp_lt_u32 s82, s66                                      // 00000000CA08: BF0A4252
	s_cselect_b32 s20, s36, s60                                // 00000000CA0C: 85143C24
	v_readlane_b32 s82, v3, 11                                 // 00000000CA10: D2890052 00011703
	s_and_b32 s82, s82, 0xffffff                               // 00000000CA18: 8652FF52 00FFFFFF
	s_cmp_lt_u32 s82, s66                                      // 00000000CA20: BF0A4252
	s_cselect_b32 s21, s36, s60                                // 00000000CA24: 85153C24
	s_mov_b64 exec, s[20:21]                                   // 00000000CA28: BEFE0114
	buffer_store_dword v77, v6, s[8:11], 0 offen               // 00000000CA2C: E0701000 80024D06
	buffer_store_dword v79, v6, s[8:11], 0 offen offset:128    // 00000000CA34: E0701080 80024F06
	s_mov_b64 exec, s[36:37]                                   // 00000000CA3C: BEFE0124
	v_mov_b32_e32 v6, v60                                      // 00000000CA40: 7E0C033C
	s_mov_b64 s[60:61], 0                                      // 00000000CA44: BEBC0180
	v_readlane_b32 s82, v3, 12                                 // 00000000CA48: D2890052 00011903
	s_and_b32 s82, s82, 0xffffff                               // 00000000CA50: 8652FF52 00FFFFFF
	s_cmp_lt_u32 s82, s66                                      // 00000000CA58: BF0A4252
	s_cselect_b32 s20, s36, s60                                // 00000000CA5C: 85143C24
	v_readlane_b32 s82, v3, 13                                 // 00000000CA60: D2890052 00011B03
	s_and_b32 s82, s82, 0xffffff                               // 00000000CA68: 8652FF52 00FFFFFF
	s_cmp_lt_u32 s82, s66                                      // 00000000CA70: BF0A4252
	s_cselect_b32 s21, s36, s60                                // 00000000CA74: 85153C24
	s_mov_b64 exec, s[20:21]                                   // 00000000CA78: BEFE0114
	buffer_store_dword v80, v6, s[8:11], 0 offen               // 00000000CA7C: E0701000 80025006
	buffer_store_dword v82, v6, s[8:11], 0 offen offset:128    // 00000000CA84: E0701080 80025206
	s_mov_b64 exec, s[36:37]                                   // 00000000CA8C: BEFE0124
	v_mov_b32_e32 v6, v61                                      // 00000000CA90: 7E0C033D
	s_mov_b64 s[60:61], 0                                      // 00000000CA94: BEBC0180
	v_readlane_b32 s82, v3, 14                                 // 00000000CA98: D2890052 00011D03
	s_and_b32 s82, s82, 0xffffff                               // 00000000CAA0: 8652FF52 00FFFFFF
	s_cmp_lt_u32 s82, s66                                      // 00000000CAA8: BF0A4252
	s_cselect_b32 s20, s36, s60                                // 00000000CAAC: 85143C24
	v_readlane_b32 s82, v3, 15                                 // 00000000CAB0: D2890052 00011F03
	s_and_b32 s82, s82, 0xffffff                               // 00000000CAB8: 8652FF52 00FFFFFF
	s_cmp_lt_u32 s82, s66                                      // 00000000CAC0: BF0A4252
	s_cselect_b32 s21, s36, s60                                // 00000000CAC4: 85153C24
	s_mov_b64 exec, s[20:21]                                   // 00000000CAC8: BEFE0114
	buffer_store_dword v81, v6, s[8:11], 0 offen               // 00000000CACC: E0701000 80025106
	buffer_store_dword v83, v6, s[8:11], 0 offen offset:128    // 00000000CAD4: E0701080 80025306
	s_mov_b64 exec, s[36:37]                                   // 00000000CADC: BEFE0124
	v_mov_b32_e32 v6, v62                                      // 00000000CAE0: 7E0C033E
	s_mov_b64 s[60:61], 0                                      // 00000000CAE4: BEBC0180
	v_readlane_b32 s82, v3, 16                                 // 00000000CAE8: D2890052 00012103
	s_and_b32 s82, s82, 0xffffff                               // 00000000CAF0: 8652FF52 00FFFFFF
	s_cmp_lt_u32 s82, s66                                      // 00000000CAF8: BF0A4252
	s_cselect_b32 s20, s36, s60                                // 00000000CAFC: 85143C24
	v_readlane_b32 s82, v3, 17                                 // 00000000CB00: D2890052 00012303
	s_and_b32 s82, s82, 0xffffff                               // 00000000CB08: 8652FF52 00FFFFFF
	s_cmp_lt_u32 s82, s66                                      // 00000000CB10: BF0A4252
	s_cselect_b32 s21, s36, s60                                // 00000000CB14: 85153C24
	s_mov_b64 exec, s[20:21]                                   // 00000000CB18: BEFE0114
	buffer_store_dword v84, v6, s[8:11], 0 offen               // 00000000CB1C: E0701000 80025406
	buffer_store_dword v86, v6, s[8:11], 0 offen offset:128    // 00000000CB24: E0701080 80025606
	s_mov_b64 exec, s[36:37]                                   // 00000000CB2C: BEFE0124
	v_mov_b32_e32 v6, v63                                      // 00000000CB30: 7E0C033F
	s_mov_b64 s[60:61], 0                                      // 00000000CB34: BEBC0180
	v_readlane_b32 s82, v3, 18                                 // 00000000CB38: D2890052 00012503
	s_and_b32 s82, s82, 0xffffff                               // 00000000CB40: 8652FF52 00FFFFFF
	s_cmp_lt_u32 s82, s66                                      // 00000000CB48: BF0A4252
	s_cselect_b32 s20, s36, s60                                // 00000000CB4C: 85143C24
	v_readlane_b32 s82, v3, 19                                 // 00000000CB50: D2890052 00012703
	s_and_b32 s82, s82, 0xffffff                               // 00000000CB58: 8652FF52 00FFFFFF
	s_cmp_lt_u32 s82, s66                                      // 00000000CB60: BF0A4252
	s_cselect_b32 s21, s36, s60                                // 00000000CB64: 85153C24
	s_mov_b64 exec, s[20:21]                                   // 00000000CB68: BEFE0114
	buffer_store_dword v85, v6, s[8:11], 0 offen               // 00000000CB6C: E0701000 80025506
	buffer_store_dword v87, v6, s[8:11], 0 offen offset:128    // 00000000CB74: E0701080 80025706
	s_mov_b64 exec, s[36:37]                                   // 00000000CB7C: BEFE0124
	v_mov_b32_e32 v6, v64                                      // 00000000CB80: 7E0C0340
	s_mov_b64 s[60:61], 0                                      // 00000000CB84: BEBC0180
	v_readlane_b32 s82, v3, 20                                 // 00000000CB88: D2890052 00012903
	s_and_b32 s82, s82, 0xffffff                               // 00000000CB90: 8652FF52 00FFFFFF
	s_cmp_lt_u32 s82, s66                                      // 00000000CB98: BF0A4252
	s_cselect_b32 s20, s36, s60                                // 00000000CB9C: 85143C24
	v_readlane_b32 s82, v3, 21                                 // 00000000CBA0: D2890052 00012B03
	s_and_b32 s82, s82, 0xffffff                               // 00000000CBA8: 8652FF52 00FFFFFF
	s_cmp_lt_u32 s82, s66                                      // 00000000CBB0: BF0A4252
	s_cselect_b32 s21, s36, s60                                // 00000000CBB4: 85153C24
	s_mov_b64 exec, s[20:21]                                   // 00000000CBB8: BEFE0114
	buffer_store_dword v88, v6, s[8:11], 0 offen               // 00000000CBBC: E0701000 80025806
	buffer_store_dword v90, v6, s[8:11], 0 offen offset:128    // 00000000CBC4: E0701080 80025A06
	s_mov_b64 exec, s[36:37]                                   // 00000000CBCC: BEFE0124
	v_mov_b32_e32 v6, v65                                      // 00000000CBD0: 7E0C0341
	s_mov_b64 s[60:61], 0                                      // 00000000CBD4: BEBC0180
	v_readlane_b32 s82, v3, 22                                 // 00000000CBD8: D2890052 00012D03
	s_and_b32 s82, s82, 0xffffff                               // 00000000CBE0: 8652FF52 00FFFFFF
	s_cmp_lt_u32 s82, s66                                      // 00000000CBE8: BF0A4252
	s_cselect_b32 s20, s36, s60                                // 00000000CBEC: 85143C24
	v_readlane_b32 s82, v3, 23                                 // 00000000CBF0: D2890052 00012F03
	s_and_b32 s82, s82, 0xffffff                               // 00000000CBF8: 8652FF52 00FFFFFF
	s_cmp_lt_u32 s82, s66                                      // 00000000CC00: BF0A4252
	s_cselect_b32 s21, s36, s60                                // 00000000CC04: 85153C24
	s_mov_b64 exec, s[20:21]                                   // 00000000CC08: BEFE0114
	buffer_store_dword v89, v6, s[8:11], 0 offen               // 00000000CC0C: E0701000 80025906
	buffer_store_dword v91, v6, s[8:11], 0 offen offset:128    // 00000000CC14: E0701080 80025B06
	s_mov_b64 exec, s[36:37]                                   // 00000000CC1C: BEFE0124
	s_branch label_2E9E                                        // 00000000CC20: BF820612

000000000000cc24 <label_288C>:
	ds_write_b64 v20, v[68:69]                                 // 00000000CC24: D89A0000 00004414
	ds_write_b64 v20, v[72:73] offset:4352                     // 00000000CC2C: D89A1100 00004814
	ds_write_b64 v20, v[76:77] offset:8704                     // 00000000CC34: D89A2200 00004C14
	ds_write_b64 v20, v[80:81] offset:13056                    // 00000000CC3C: D89A3300 00005014
	ds_write_b64 v20, v[84:85] offset:17408                    // 00000000CC44: D89A4400 00005414
	ds_write_b64 v20, v[88:89] offset:21760                    // 00000000CC4C: D89A5500 00005814
	ds_write_b64 v20, v[92:93] offset:2176                     // 00000000CC54: D89A0880 00005C14
	ds_write_b64 v20, v[96:97] offset:6528                     // 00000000CC5C: D89A1980 00006014
	ds_write_b64 v20, v[100:101] offset:10880                  // 00000000CC64: D89A2A80 00006414
	ds_write_b64 v20, v[104:105] offset:15232                  // 00000000CC6C: D89A3B80 00006814
	ds_write_b64 v20, v[108:109] offset:19584                  // 00000000CC74: D89A4C80 00006C14
	ds_write_b64 v20, v[112:113] offset:23936                  // 00000000CC7C: D89A5D80 00007014
	v_lshrrev_b32_e32 v4, 5, v0                                // 00000000CC84: 20080085
	v_xor_b32_e32 v5, 1, v4                                    // 00000000CC88: 2A0A0881
	s_mul_i32 s60, s65, 2                                      // 00000000CC8C: 923C8241
	s_cmp_eq_u32 s88, 0                                        // 00000000CC90: BF068058
	s_cselect_b32 s61, 1, 4                                    // 00000000CC94: 853D8481
	s_mul_i32 s60, s61, s60                                    // 00000000CC98: 923C3C3D
	v_readlane_b32 s82, v3, 0                                  // 00000000CC9C: D2890052 00010103
	s_lshr_b32 s61, s82, 24                                    // 00000000CCA4: 8F3D9852
	s_and_b32 s82, s82, 0xffffff                               // 00000000CCA8: 8652FF52 00FFFFFF
	s_mul_i32 s82, s82, s71                                    // 00000000CCB0: 92524752
	s_mul_i32 s61, s60, s61                                    // 00000000CCB4: 923D3D3C
	s_add_u32 s82, s82, s61                                    // 00000000CCB8: 80523D52
	v_mul_lo_u32 v6, v5, s82                                   // 00000000CCBC: D2850006 0000A505
	v_readlane_b32 s82, v3, 1                                  // 00000000CCC4: D2890052 00010303
	s_lshr_b32 s61, s82, 24                                    // 00000000CCCC: 8F3D9852
	s_and_b32 s82, s82, 0xffffff                               // 00000000CCD0: 8652FF52 00FFFFFF
	s_mul_i32 s82, s82, s71                                    // 00000000CCD8: 92524752
	s_mul_i32 s61, s60, s61                                    // 00000000CCDC: 923D3D3C
	s_add_u32 s82, s82, s61                                    // 00000000CCE0: 80523D52
	v_mul_lo_u32 v7, v4, s82                                   // 00000000CCE4: D2850007 0000A504
	v_add_u32_e32 v54, v6, v7                                  // 00000000CCEC: 686C0F06
	v_readlane_b32 s82, v3, 2                                  // 00000000CCF0: D2890052 00010503
	s_lshr_b32 s61, s82, 24                                    // 00000000CCF8: 8F3D9852
	s_and_b32 s82, s82, 0xffffff                               // 00000000CCFC: 8652FF52 00FFFFFF
	s_mul_i32 s82, s82, s71                                    // 00000000CD04: 92524752
	s_mul_i32 s61, s60, s61                                    // 00000000CD08: 923D3D3C
	s_add_u32 s82, s82, s61                                    // 00000000CD0C: 80523D52
	v_mul_lo_u32 v6, v5, s82                                   // 00000000CD10: D2850006 0000A505
	v_readlane_b32 s82, v3, 3                                  // 00000000CD18: D2890052 00010703
	s_lshr_b32 s61, s82, 24                                    // 00000000CD20: 8F3D9852
	s_and_b32 s82, s82, 0xffffff                               // 00000000CD24: 8652FF52 00FFFFFF
	s_mul_i32 s82, s82, s71                                    // 00000000CD2C: 92524752
	s_mul_i32 s61, s60, s61                                    // 00000000CD30: 923D3D3C
	s_add_u32 s82, s82, s61                                    // 00000000CD34: 80523D52
	v_mul_lo_u32 v7, v4, s82                                   // 00000000CD38: D2850007 0000A504
	v_add_u32_e32 v55, v6, v7                                  // 00000000CD40: 686E0F06
	v_readlane_b32 s82, v3, 4                                  // 00000000CD44: D2890052 00010903
	s_lshr_b32 s61, s82, 24                                    // 00000000CD4C: 8F3D9852
	s_and_b32 s82, s82, 0xffffff                               // 00000000CD50: 8652FF52 00FFFFFF
	s_mul_i32 s82, s82, s71                                    // 00000000CD58: 92524752
	s_mul_i32 s61, s60, s61                                    // 00000000CD5C: 923D3D3C
	s_add_u32 s82, s82, s61                                    // 00000000CD60: 80523D52
	v_mul_lo_u32 v6, v5, s82                                   // 00000000CD64: D2850006 0000A505
	v_readlane_b32 s82, v3, 5                                  // 00000000CD6C: D2890052 00010B03
	s_lshr_b32 s61, s82, 24                                    // 00000000CD74: 8F3D9852
	s_and_b32 s82, s82, 0xffffff                               // 00000000CD78: 8652FF52 00FFFFFF
	s_mul_i32 s82, s82, s71                                    // 00000000CD80: 92524752
	s_mul_i32 s61, s60, s61                                    // 00000000CD84: 923D3D3C
	s_add_u32 s82, s82, s61                                    // 00000000CD88: 80523D52
	v_mul_lo_u32 v7, v4, s82                                   // 00000000CD8C: D2850007 0000A504
	v_add_u32_e32 v56, v6, v7                                  // 00000000CD94: 68700F06
	v_readlane_b32 s82, v3, 6                                  // 00000000CD98: D2890052 00010D03
	s_lshr_b32 s61, s82, 24                                    // 00000000CDA0: 8F3D9852
	s_and_b32 s82, s82, 0xffffff                               // 00000000CDA4: 8652FF52 00FFFFFF
	s_mul_i32 s82, s82, s71                                    // 00000000CDAC: 92524752
	s_mul_i32 s61, s60, s61                                    // 00000000CDB0: 923D3D3C
	s_add_u32 s82, s82, s61                                    // 00000000CDB4: 80523D52
	v_mul_lo_u32 v6, v5, s82                                   // 00000000CDB8: D2850006 0000A505
	v_readlane_b32 s82, v3, 7                                  // 00000000CDC0: D2890052 00010F03
	s_lshr_b32 s61, s82, 24                                    // 00000000CDC8: 8F3D9852
	s_and_b32 s82, s82, 0xffffff                               // 00000000CDCC: 8652FF52 00FFFFFF
	s_mul_i32 s82, s82, s71                                    // 00000000CDD4: 92524752
	s_mul_i32 s61, s60, s61                                    // 00000000CDD8: 923D3D3C
	s_add_u32 s82, s82, s61                                    // 00000000CDDC: 80523D52
	v_mul_lo_u32 v7, v4, s82                                   // 00000000CDE0: D2850007 0000A504
	v_add_u32_e32 v57, v6, v7                                  // 00000000CDE8: 68720F06
	v_readlane_b32 s82, v3, 8                                  // 00000000CDEC: D2890052 00011103
	s_lshr_b32 s61, s82, 24                                    // 00000000CDF4: 8F3D9852
	s_and_b32 s82, s82, 0xffffff                               // 00000000CDF8: 8652FF52 00FFFFFF
	s_mul_i32 s82, s82, s71                                    // 00000000CE00: 92524752
	s_mul_i32 s61, s60, s61                                    // 00000000CE04: 923D3D3C
	s_add_u32 s82, s82, s61                                    // 00000000CE08: 80523D52
	v_mul_lo_u32 v6, v5, s82                                   // 00000000CE0C: D2850006 0000A505
	v_readlane_b32 s82, v3, 9                                  // 00000000CE14: D2890052 00011303
	s_lshr_b32 s61, s82, 24                                    // 00000000CE1C: 8F3D9852
	s_and_b32 s82, s82, 0xffffff                               // 00000000CE20: 8652FF52 00FFFFFF
	s_mul_i32 s82, s82, s71                                    // 00000000CE28: 92524752
	s_mul_i32 s61, s60, s61                                    // 00000000CE2C: 923D3D3C
	s_add_u32 s82, s82, s61                                    // 00000000CE30: 80523D52
	v_mul_lo_u32 v7, v4, s82                                   // 00000000CE34: D2850007 0000A504
	v_add_u32_e32 v58, v6, v7                                  // 00000000CE3C: 68740F06
	v_readlane_b32 s82, v3, 10                                 // 00000000CE40: D2890052 00011503
	s_lshr_b32 s61, s82, 24                                    // 00000000CE48: 8F3D9852
	s_and_b32 s82, s82, 0xffffff                               // 00000000CE4C: 8652FF52 00FFFFFF
	s_mul_i32 s82, s82, s71                                    // 00000000CE54: 92524752
	s_mul_i32 s61, s60, s61                                    // 00000000CE58: 923D3D3C
	s_add_u32 s82, s82, s61                                    // 00000000CE5C: 80523D52
	v_mul_lo_u32 v6, v5, s82                                   // 00000000CE60: D2850006 0000A505
	v_readlane_b32 s82, v3, 11                                 // 00000000CE68: D2890052 00011703
	s_lshr_b32 s61, s82, 24                                    // 00000000CE70: 8F3D9852
	s_and_b32 s82, s82, 0xffffff                               // 00000000CE74: 8652FF52 00FFFFFF
	s_mul_i32 s82, s82, s71                                    // 00000000CE7C: 92524752
	s_mul_i32 s61, s60, s61                                    // 00000000CE80: 923D3D3C
	s_add_u32 s82, s82, s61                                    // 00000000CE84: 80523D52
	v_mul_lo_u32 v7, v4, s82                                   // 00000000CE88: D2850007 0000A504
	v_add_u32_e32 v59, v6, v7                                  // 00000000CE90: 68760F06
	v_readlane_b32 s82, v3, 12                                 // 00000000CE94: D2890052 00011903
	s_lshr_b32 s61, s82, 24                                    // 00000000CE9C: 8F3D9852
	s_and_b32 s82, s82, 0xffffff                               // 00000000CEA0: 8652FF52 00FFFFFF
	s_mul_i32 s82, s82, s71                                    // 00000000CEA8: 92524752
	s_mul_i32 s61, s60, s61                                    // 00000000CEAC: 923D3D3C
	s_add_u32 s82, s82, s61                                    // 00000000CEB0: 80523D52
	v_mul_lo_u32 v6, v5, s82                                   // 00000000CEB4: D2850006 0000A505
	v_readlane_b32 s82, v3, 13                                 // 00000000CEBC: D2890052 00011B03
	s_lshr_b32 s61, s82, 24                                    // 00000000CEC4: 8F3D9852
	s_and_b32 s82, s82, 0xffffff                               // 00000000CEC8: 8652FF52 00FFFFFF
	s_mul_i32 s82, s82, s71                                    // 00000000CED0: 92524752
	s_mul_i32 s61, s60, s61                                    // 00000000CED4: 923D3D3C
	s_add_u32 s82, s82, s61                                    // 00000000CED8: 80523D52
	v_mul_lo_u32 v7, v4, s82                                   // 00000000CEDC: D2850007 0000A504
	v_add_u32_e32 v60, v6, v7                                  // 00000000CEE4: 68780F06
	v_readlane_b32 s82, v3, 14                                 // 00000000CEE8: D2890052 00011D03
	s_lshr_b32 s61, s82, 24                                    // 00000000CEF0: 8F3D9852
	s_and_b32 s82, s82, 0xffffff                               // 00000000CEF4: 8652FF52 00FFFFFF
	s_mul_i32 s82, s82, s71                                    // 00000000CEFC: 92524752
	s_mul_i32 s61, s60, s61                                    // 00000000CF00: 923D3D3C
	s_add_u32 s82, s82, s61                                    // 00000000CF04: 80523D52
	v_mul_lo_u32 v6, v5, s82                                   // 00000000CF08: D2850006 0000A505
	v_readlane_b32 s82, v3, 15                                 // 00000000CF10: D2890052 00011F03
	s_lshr_b32 s61, s82, 24                                    // 00000000CF18: 8F3D9852
	s_and_b32 s82, s82, 0xffffff                               // 00000000CF1C: 8652FF52 00FFFFFF
	s_mul_i32 s82, s82, s71                                    // 00000000CF24: 92524752
	s_mul_i32 s61, s60, s61                                    // 00000000CF28: 923D3D3C
	s_add_u32 s82, s82, s61                                    // 00000000CF2C: 80523D52
	v_mul_lo_u32 v7, v4, s82                                   // 00000000CF30: D2850007 0000A504
	v_add_u32_e32 v61, v6, v7                                  // 00000000CF38: 687A0F06
	v_readlane_b32 s82, v3, 16                                 // 00000000CF3C: D2890052 00012103
	s_lshr_b32 s61, s82, 24                                    // 00000000CF44: 8F3D9852
	s_and_b32 s82, s82, 0xffffff                               // 00000000CF48: 8652FF52 00FFFFFF
	s_mul_i32 s82, s82, s71                                    // 00000000CF50: 92524752
	s_mul_i32 s61, s60, s61                                    // 00000000CF54: 923D3D3C
	s_add_u32 s82, s82, s61                                    // 00000000CF58: 80523D52
	v_mul_lo_u32 v6, v5, s82                                   // 00000000CF5C: D2850006 0000A505
	v_readlane_b32 s82, v3, 17                                 // 00000000CF64: D2890052 00012303
	s_lshr_b32 s61, s82, 24                                    // 00000000CF6C: 8F3D9852
	s_and_b32 s82, s82, 0xffffff                               // 00000000CF70: 8652FF52 00FFFFFF
	s_mul_i32 s82, s82, s71                                    // 00000000CF78: 92524752
	s_mul_i32 s61, s60, s61                                    // 00000000CF7C: 923D3D3C
	s_add_u32 s82, s82, s61                                    // 00000000CF80: 80523D52
	v_mul_lo_u32 v7, v4, s82                                   // 00000000CF84: D2850007 0000A504
	v_add_u32_e32 v62, v6, v7                                  // 00000000CF8C: 687C0F06
	v_readlane_b32 s82, v3, 18                                 // 00000000CF90: D2890052 00012503
	s_lshr_b32 s61, s82, 24                                    // 00000000CF98: 8F3D9852
	s_and_b32 s82, s82, 0xffffff                               // 00000000CF9C: 8652FF52 00FFFFFF
	s_mul_i32 s82, s82, s71                                    // 00000000CFA4: 92524752
	s_mul_i32 s61, s60, s61                                    // 00000000CFA8: 923D3D3C
	s_add_u32 s82, s82, s61                                    // 00000000CFAC: 80523D52
	v_mul_lo_u32 v6, v5, s82                                   // 00000000CFB0: D2850006 0000A505
	v_readlane_b32 s82, v3, 19                                 // 00000000CFB8: D2890052 00012703
	s_lshr_b32 s61, s82, 24                                    // 00000000CFC0: 8F3D9852
	s_and_b32 s82, s82, 0xffffff                               // 00000000CFC4: 8652FF52 00FFFFFF
	s_mul_i32 s82, s82, s71                                    // 00000000CFCC: 92524752
	s_mul_i32 s61, s60, s61                                    // 00000000CFD0: 923D3D3C
	s_add_u32 s82, s82, s61                                    // 00000000CFD4: 80523D52
	v_mul_lo_u32 v7, v4, s82                                   // 00000000CFD8: D2850007 0000A504
	v_add_u32_e32 v63, v6, v7                                  // 00000000CFE0: 687E0F06
	v_readlane_b32 s82, v3, 20                                 // 00000000CFE4: D2890052 00012903
	s_lshr_b32 s61, s82, 24                                    // 00000000CFEC: 8F3D9852
	s_and_b32 s82, s82, 0xffffff                               // 00000000CFF0: 8652FF52 00FFFFFF
	s_mul_i32 s82, s82, s71                                    // 00000000CFF8: 92524752
	s_mul_i32 s61, s60, s61                                    // 00000000CFFC: 923D3D3C
	s_add_u32 s82, s82, s61                                    // 00000000D000: 80523D52
	v_mul_lo_u32 v6, v5, s82                                   // 00000000D004: D2850006 0000A505
	v_readlane_b32 s82, v3, 21                                 // 00000000D00C: D2890052 00012B03
	s_lshr_b32 s61, s82, 24                                    // 00000000D014: 8F3D9852
	s_and_b32 s82, s82, 0xffffff                               // 00000000D018: 8652FF52 00FFFFFF
	s_mul_i32 s82, s82, s71                                    // 00000000D020: 92524752
	s_mul_i32 s61, s60, s61                                    // 00000000D024: 923D3D3C
	s_add_u32 s82, s82, s61                                    // 00000000D028: 80523D52
	v_mul_lo_u32 v7, v4, s82                                   // 00000000D02C: D2850007 0000A504
	v_add_u32_e32 v64, v6, v7                                  // 00000000D034: 68800F06
	v_readlane_b32 s82, v3, 22                                 // 00000000D038: D2890052 00012D03
	s_lshr_b32 s61, s82, 24                                    // 00000000D040: 8F3D9852
	s_and_b32 s82, s82, 0xffffff                               // 00000000D044: 8652FF52 00FFFFFF
	s_mul_i32 s82, s82, s71                                    // 00000000D04C: 92524752
	s_mul_i32 s61, s60, s61                                    // 00000000D050: 923D3D3C
	s_add_u32 s82, s82, s61                                    // 00000000D054: 80523D52
	v_mul_lo_u32 v6, v5, s82                                   // 00000000D058: D2850006 0000A505
	v_readlane_b32 s82, v3, 23                                 // 00000000D060: D2890052 00012F03
	s_lshr_b32 s61, s82, 24                                    // 00000000D068: 8F3D9852
	s_and_b32 s82, s82, 0xffffff                               // 00000000D06C: 8652FF52 00FFFFFF
	s_mul_i32 s82, s82, s71                                    // 00000000D074: 92524752
	s_mul_i32 s61, s60, s61                                    // 00000000D078: 923D3D3C
	s_add_u32 s82, s82, s61                                    // 00000000D07C: 80523D52
	v_mul_lo_u32 v7, v4, s82                                   // 00000000D080: D2850007 0000A504
	v_add_u32_e32 v65, v6, v7                                  // 00000000D088: 68820F06
	v_and_b32_e32 v4, 31, v0                                   // 00000000D08C: 2608009F
	v_lshrrev_b32_e32 v4, 1, v4                                // 00000000D090: 20080881
	s_cmp_eq_u32 s88, 0                                        // 00000000D094: BF068058
	s_cselect_b32 s61, 2, 4                                    // 00000000D098: 853D8482
	v_mul_lo_u32 v4, v4, s61                                   // 00000000D09C: D2850004 00007B04
	v_and_b32_e64 v5, v0, 1                                    // 00000000D0A4: D1130005 00010300
	v_add_u32_e32 v4, v4, v5                                   // 00000000D0AC: 68080B04
	v_lshlrev_b32_e32 v4, 2, v4                                // 00000000D0B0: 24080882
	v_add_u32_e32 v54, v54, v4                                 // 00000000D0B4: 686C0936
	v_add_u32_e32 v55, v55, v4                                 // 00000000D0B8: 686E0937
	v_add_u32_e32 v56, v56, v4                                 // 00000000D0BC: 68700938
	v_add_u32_e32 v57, v57, v4                                 // 00000000D0C0: 68720939
	v_add_u32_e32 v58, v58, v4                                 // 00000000D0C4: 6874093A
	v_add_u32_e32 v59, v59, v4                                 // 00000000D0C8: 6876093B
	v_add_u32_e32 v60, v60, v4                                 // 00000000D0CC: 6878093C
	v_add_u32_e32 v61, v61, v4                                 // 00000000D0D0: 687A093D
	v_add_u32_e32 v62, v62, v4                                 // 00000000D0D4: 687C093E
	v_add_u32_e32 v63, v63, v4                                 // 00000000D0D8: 687E093F
	v_add_u32_e32 v64, v64, v4                                 // 00000000D0DC: 68800940
	v_add_u32_e32 v65, v65, v4                                 // 00000000D0E0: 68820941
	s_waitcnt lgkmcnt(0)                                       // 00000000D0E4: BF8CC07F
	s_barrier                                                  // 00000000D0E8: BF8A0000
	ds_read_b32 v68, v21                                       // 00000000D0EC: D86C0000 44000015
	ds_read_b32 v69, v21 offset:64                             // 00000000D0F4: D86C0040 45000015
	ds_read_b32 v72, v21 offset:2176                           // 00000000D0FC: D86C0880 48000015
	ds_read_b32 v73, v21 offset:2240                           // 00000000D104: D86C08C0 49000015
	ds_read_b32 v76, v21 offset:4352                           // 00000000D10C: D86C1100 4C000015
	ds_read_b32 v77, v21 offset:4416                           // 00000000D114: D86C1140 4D000015
	ds_read_b32 v80, v21 offset:6528                           // 00000000D11C: D86C1980 50000015
	ds_read_b32 v81, v21 offset:6592                           // 00000000D124: D86C19C0 51000015
	ds_read_b32 v84, v21 offset:8704                           // 00000000D12C: D86C2200 54000015
	ds_read_b32 v85, v21 offset:8768                           // 00000000D134: D86C2240 55000015
	ds_read_b32 v88, v21 offset:10880                          // 00000000D13C: D86C2A80 58000015
	ds_read_b32 v89, v21 offset:10944                          // 00000000D144: D86C2AC0 59000015
	ds_read_b32 v92, v21 offset:13056                          // 00000000D14C: D86C3300 5C000015
	ds_read_b32 v93, v21 offset:13120                          // 00000000D154: D86C3340 5D000015
	ds_read_b32 v96, v21 offset:15232                          // 00000000D15C: D86C3B80 60000015
	ds_read_b32 v97, v21 offset:15296                          // 00000000D164: D86C3BC0 61000015
	ds_read_b32 v100, v21 offset:17408                         // 00000000D16C: D86C4400 64000015
	ds_read_b32 v101, v21 offset:17472                         // 00000000D174: D86C4440 65000015
	ds_read_b32 v104, v21 offset:19584                         // 00000000D17C: D86C4C80 68000015
	ds_read_b32 v105, v21 offset:19648                         // 00000000D184: D86C4CC0 69000015
	ds_read_b32 v108, v21 offset:21760                         // 00000000D18C: D86C5500 6C000015
	ds_read_b32 v109, v21 offset:21824                         // 00000000D194: D86C5540 6D000015
	ds_read_b32 v112, v21 offset:23936                         // 00000000D19C: D86C5D80 70000015
	ds_read_b32 v113, v21 offset:24000                         // 00000000D1A4: D86C5DC0 71000015
	s_waitcnt lgkmcnt(0)                                       // 00000000D1AC: BF8CC07F
	s_mov_b32 s36, -1                                          // 00000000D1B0: BEA400C1
	s_mov_b32 s37, -1                                          // 00000000D1B4: BEA500C1
	v_mov_b32_e32 v7, 0                                        // 00000000D1B8: 7E0E0280
	s_mov_b64 exec, s[36:37]                                   // 00000000D1BC: BEFE0124
	v_mov_b32_e32 v6, v54                                      // 00000000D1C0: 7E0C0336
	s_mov_b64 s[60:61], 0                                      // 00000000D1C4: BEBC0180
	v_readlane_b32 s82, v3, 0                                  // 00000000D1C8: D2890052 00010103
	s_and_b32 s82, s82, 0xffffff                               // 00000000D1D0: 8652FF52 00FFFFFF
	s_cmp_lt_u32 s82, s66                                      // 00000000D1D8: BF0A4252
	s_cselect_b32 s20, s36, s60                                // 00000000D1DC: 85143C24
	v_readlane_b32 s82, v3, 1                                  // 00000000D1E0: D2890052 00010303
	s_and_b32 s82, s82, 0xffffff                               // 00000000D1E8: 8652FF52 00FFFFFF
	s_cmp_lt_u32 s82, s66                                      // 00000000D1F0: BF0A4252
	s_cselect_b32 s21, s36, s60                                // 00000000D1F4: 85153C24
	s_mov_b64 exec, s[20:21]                                   // 00000000D1F8: BEFE0114
	global_atomic_add_f32 v6, v68, s[8:9]                      // 00000000D1FC: DD348000 00084406
	global_atomic_add_f32 v6, v72, s[8:9] offset:256           // 00000000D204: DD348100 00084806
	s_mov_b64 exec, s[36:37]                                   // 00000000D20C: BEFE0124
	v_mov_b32_e32 v6, v55                                      // 00000000D210: 7E0C0337
	s_mov_b64 s[60:61], 0                                      // 00000000D214: BEBC0180
	v_readlane_b32 s82, v3, 2                                  // 00000000D218: D2890052 00010503
	s_and_b32 s82, s82, 0xffffff                               // 00000000D220: 8652FF52 00FFFFFF
	s_cmp_lt_u32 s82, s66                                      // 00000000D228: BF0A4252
	s_cselect_b32 s20, s36, s60                                // 00000000D22C: 85143C24
	v_readlane_b32 s82, v3, 3                                  // 00000000D230: D2890052 00010703
	s_and_b32 s82, s82, 0xffffff                               // 00000000D238: 8652FF52 00FFFFFF
	s_cmp_lt_u32 s82, s66                                      // 00000000D240: BF0A4252
	s_cselect_b32 s21, s36, s60                                // 00000000D244: 85153C24
	s_mov_b64 exec, s[20:21]                                   // 00000000D248: BEFE0114
	global_atomic_add_f32 v6, v69, s[8:9]                      // 00000000D24C: DD348000 00084506
	global_atomic_add_f32 v6, v73, s[8:9] offset:256           // 00000000D254: DD348100 00084906
	s_mov_b64 exec, s[36:37]                                   // 00000000D25C: BEFE0124
	v_mov_b32_e32 v6, v56                                      // 00000000D260: 7E0C0338
	s_mov_b64 s[60:61], 0                                      // 00000000D264: BEBC0180
	v_readlane_b32 s82, v3, 4                                  // 00000000D268: D2890052 00010903
	s_and_b32 s82, s82, 0xffffff                               // 00000000D270: 8652FF52 00FFFFFF
	s_cmp_lt_u32 s82, s66                                      // 00000000D278: BF0A4252
	s_cselect_b32 s20, s36, s60                                // 00000000D27C: 85143C24
	v_readlane_b32 s82, v3, 5                                  // 00000000D280: D2890052 00010B03
	s_and_b32 s82, s82, 0xffffff                               // 00000000D288: 8652FF52 00FFFFFF
	s_cmp_lt_u32 s82, s66                                      // 00000000D290: BF0A4252
	s_cselect_b32 s21, s36, s60                                // 00000000D294: 85153C24
	s_mov_b64 exec, s[20:21]                                   // 00000000D298: BEFE0114
	global_atomic_add_f32 v6, v76, s[8:9]                      // 00000000D29C: DD348000 00084C06
	global_atomic_add_f32 v6, v80, s[8:9] offset:256           // 00000000D2A4: DD348100 00085006
	s_mov_b64 exec, s[36:37]                                   // 00000000D2AC: BEFE0124
	v_mov_b32_e32 v6, v57                                      // 00000000D2B0: 7E0C0339
	s_mov_b64 s[60:61], 0                                      // 00000000D2B4: BEBC0180
	v_readlane_b32 s82, v3, 6                                  // 00000000D2B8: D2890052 00010D03
	s_and_b32 s82, s82, 0xffffff                               // 00000000D2C0: 8652FF52 00FFFFFF
	s_cmp_lt_u32 s82, s66                                      // 00000000D2C8: BF0A4252
	s_cselect_b32 s20, s36, s60                                // 00000000D2CC: 85143C24
	v_readlane_b32 s82, v3, 7                                  // 00000000D2D0: D2890052 00010F03
	s_and_b32 s82, s82, 0xffffff                               // 00000000D2D8: 8652FF52 00FFFFFF
	s_cmp_lt_u32 s82, s66                                      // 00000000D2E0: BF0A4252
	s_cselect_b32 s21, s36, s60                                // 00000000D2E4: 85153C24
	s_mov_b64 exec, s[20:21]                                   // 00000000D2E8: BEFE0114
	global_atomic_add_f32 v6, v77, s[8:9]                      // 00000000D2EC: DD348000 00084D06
	global_atomic_add_f32 v6, v81, s[8:9] offset:256           // 00000000D2F4: DD348100 00085106
	s_mov_b64 exec, s[36:37]                                   // 00000000D2FC: BEFE0124
	v_mov_b32_e32 v6, v58                                      // 00000000D300: 7E0C033A
	s_mov_b64 s[60:61], 0                                      // 00000000D304: BEBC0180
	v_readlane_b32 s82, v3, 8                                  // 00000000D308: D2890052 00011103
	s_and_b32 s82, s82, 0xffffff                               // 00000000D310: 8652FF52 00FFFFFF
	s_cmp_lt_u32 s82, s66                                      // 00000000D318: BF0A4252
	s_cselect_b32 s20, s36, s60                                // 00000000D31C: 85143C24
	v_readlane_b32 s82, v3, 9                                  // 00000000D320: D2890052 00011303
	s_and_b32 s82, s82, 0xffffff                               // 00000000D328: 8652FF52 00FFFFFF
	s_cmp_lt_u32 s82, s66                                      // 00000000D330: BF0A4252
	s_cselect_b32 s21, s36, s60                                // 00000000D334: 85153C24
	s_mov_b64 exec, s[20:21]                                   // 00000000D338: BEFE0114
	global_atomic_add_f32 v6, v84, s[8:9]                      // 00000000D33C: DD348000 00085406
	global_atomic_add_f32 v6, v88, s[8:9] offset:256           // 00000000D344: DD348100 00085806
	s_mov_b64 exec, s[36:37]                                   // 00000000D34C: BEFE0124
	v_mov_b32_e32 v6, v59                                      // 00000000D350: 7E0C033B
	s_mov_b64 s[60:61], 0                                      // 00000000D354: BEBC0180
	v_readlane_b32 s82, v3, 10                                 // 00000000D358: D2890052 00011503
	s_and_b32 s82, s82, 0xffffff                               // 00000000D360: 8652FF52 00FFFFFF
	s_cmp_lt_u32 s82, s66                                      // 00000000D368: BF0A4252
	s_cselect_b32 s20, s36, s60                                // 00000000D36C: 85143C24
	v_readlane_b32 s82, v3, 11                                 // 00000000D370: D2890052 00011703
	s_and_b32 s82, s82, 0xffffff                               // 00000000D378: 8652FF52 00FFFFFF
	s_cmp_lt_u32 s82, s66                                      // 00000000D380: BF0A4252
	s_cselect_b32 s21, s36, s60                                // 00000000D384: 85153C24
	s_mov_b64 exec, s[20:21]                                   // 00000000D388: BEFE0114
	global_atomic_add_f32 v6, v85, s[8:9]                      // 00000000D38C: DD348000 00085506
	global_atomic_add_f32 v6, v89, s[8:9] offset:256           // 00000000D394: DD348100 00085906
	s_mov_b64 exec, s[36:37]                                   // 00000000D39C: BEFE0124
	v_mov_b32_e32 v6, v60                                      // 00000000D3A0: 7E0C033C
	s_mov_b64 s[60:61], 0                                      // 00000000D3A4: BEBC0180
	v_readlane_b32 s82, v3, 12                                 // 00000000D3A8: D2890052 00011903
	s_and_b32 s82, s82, 0xffffff                               // 00000000D3B0: 8652FF52 00FFFFFF
	s_cmp_lt_u32 s82, s66                                      // 00000000D3B8: BF0A4252
	s_cselect_b32 s20, s36, s60                                // 00000000D3BC: 85143C24
	v_readlane_b32 s82, v3, 13                                 // 00000000D3C0: D2890052 00011B03
	s_and_b32 s82, s82, 0xffffff                               // 00000000D3C8: 8652FF52 00FFFFFF
	s_cmp_lt_u32 s82, s66                                      // 00000000D3D0: BF0A4252
	s_cselect_b32 s21, s36, s60                                // 00000000D3D4: 85153C24
	s_mov_b64 exec, s[20:21]                                   // 00000000D3D8: BEFE0114
	global_atomic_add_f32 v6, v92, s[8:9]                      // 00000000D3DC: DD348000 00085C06
	global_atomic_add_f32 v6, v96, s[8:9] offset:256           // 00000000D3E4: DD348100 00086006
	s_mov_b64 exec, s[36:37]                                   // 00000000D3EC: BEFE0124
	v_mov_b32_e32 v6, v61                                      // 00000000D3F0: 7E0C033D
	s_mov_b64 s[60:61], 0                                      // 00000000D3F4: BEBC0180
	v_readlane_b32 s82, v3, 14                                 // 00000000D3F8: D2890052 00011D03
	s_and_b32 s82, s82, 0xffffff                               // 00000000D400: 8652FF52 00FFFFFF
	s_cmp_lt_u32 s82, s66                                      // 00000000D408: BF0A4252
	s_cselect_b32 s20, s36, s60                                // 00000000D40C: 85143C24
	v_readlane_b32 s82, v3, 15                                 // 00000000D410: D2890052 00011F03
	s_and_b32 s82, s82, 0xffffff                               // 00000000D418: 8652FF52 00FFFFFF
	s_cmp_lt_u32 s82, s66                                      // 00000000D420: BF0A4252
	s_cselect_b32 s21, s36, s60                                // 00000000D424: 85153C24
	s_mov_b64 exec, s[20:21]                                   // 00000000D428: BEFE0114
	global_atomic_add_f32 v6, v93, s[8:9]                      // 00000000D42C: DD348000 00085D06
	global_atomic_add_f32 v6, v97, s[8:9] offset:256           // 00000000D434: DD348100 00086106
	s_mov_b64 exec, s[36:37]                                   // 00000000D43C: BEFE0124
	v_mov_b32_e32 v6, v62                                      // 00000000D440: 7E0C033E
	s_mov_b64 s[60:61], 0                                      // 00000000D444: BEBC0180
	v_readlane_b32 s82, v3, 16                                 // 00000000D448: D2890052 00012103
	s_and_b32 s82, s82, 0xffffff                               // 00000000D450: 8652FF52 00FFFFFF
	s_cmp_lt_u32 s82, s66                                      // 00000000D458: BF0A4252
	s_cselect_b32 s20, s36, s60                                // 00000000D45C: 85143C24
	v_readlane_b32 s82, v3, 17                                 // 00000000D460: D2890052 00012303
	s_and_b32 s82, s82, 0xffffff                               // 00000000D468: 8652FF52 00FFFFFF
	s_cmp_lt_u32 s82, s66                                      // 00000000D470: BF0A4252
	s_cselect_b32 s21, s36, s60                                // 00000000D474: 85153C24
	s_mov_b64 exec, s[20:21]                                   // 00000000D478: BEFE0114
	global_atomic_add_f32 v6, v100, s[8:9]                     // 00000000D47C: DD348000 00086406
	global_atomic_add_f32 v6, v104, s[8:9] offset:256          // 00000000D484: DD348100 00086806
	s_mov_b64 exec, s[36:37]                                   // 00000000D48C: BEFE0124
	v_mov_b32_e32 v6, v63                                      // 00000000D490: 7E0C033F
	s_mov_b64 s[60:61], 0                                      // 00000000D494: BEBC0180
	v_readlane_b32 s82, v3, 18                                 // 00000000D498: D2890052 00012503
	s_and_b32 s82, s82, 0xffffff                               // 00000000D4A0: 8652FF52 00FFFFFF
	s_cmp_lt_u32 s82, s66                                      // 00000000D4A8: BF0A4252
	s_cselect_b32 s20, s36, s60                                // 00000000D4AC: 85143C24
	v_readlane_b32 s82, v3, 19                                 // 00000000D4B0: D2890052 00012703
	s_and_b32 s82, s82, 0xffffff                               // 00000000D4B8: 8652FF52 00FFFFFF
	s_cmp_lt_u32 s82, s66                                      // 00000000D4C0: BF0A4252
	s_cselect_b32 s21, s36, s60                                // 00000000D4C4: 85153C24
	s_mov_b64 exec, s[20:21]                                   // 00000000D4C8: BEFE0114
	global_atomic_add_f32 v6, v101, s[8:9]                     // 00000000D4CC: DD348000 00086506
	global_atomic_add_f32 v6, v105, s[8:9] offset:256          // 00000000D4D4: DD348100 00086906
	s_mov_b64 exec, s[36:37]                                   // 00000000D4DC: BEFE0124
	v_mov_b32_e32 v6, v64                                      // 00000000D4E0: 7E0C0340
	s_mov_b64 s[60:61], 0                                      // 00000000D4E4: BEBC0180
	v_readlane_b32 s82, v3, 20                                 // 00000000D4E8: D2890052 00012903
	s_and_b32 s82, s82, 0xffffff                               // 00000000D4F0: 8652FF52 00FFFFFF
	s_cmp_lt_u32 s82, s66                                      // 00000000D4F8: BF0A4252
	s_cselect_b32 s20, s36, s60                                // 00000000D4FC: 85143C24
	v_readlane_b32 s82, v3, 21                                 // 00000000D500: D2890052 00012B03
	s_and_b32 s82, s82, 0xffffff                               // 00000000D508: 8652FF52 00FFFFFF
	s_cmp_lt_u32 s82, s66                                      // 00000000D510: BF0A4252
	s_cselect_b32 s21, s36, s60                                // 00000000D514: 85153C24
	s_mov_b64 exec, s[20:21]                                   // 00000000D518: BEFE0114
	global_atomic_add_f32 v6, v108, s[8:9]                     // 00000000D51C: DD348000 00086C06
	global_atomic_add_f32 v6, v112, s[8:9] offset:256          // 00000000D524: DD348100 00087006
	s_mov_b64 exec, s[36:37]                                   // 00000000D52C: BEFE0124
	v_mov_b32_e32 v6, v65                                      // 00000000D530: 7E0C0341
	s_mov_b64 s[60:61], 0                                      // 00000000D534: BEBC0180
	v_readlane_b32 s82, v3, 22                                 // 00000000D538: D2890052 00012D03
	s_and_b32 s82, s82, 0xffffff                               // 00000000D540: 8652FF52 00FFFFFF
	s_cmp_lt_u32 s82, s66                                      // 00000000D548: BF0A4252
	s_cselect_b32 s20, s36, s60                                // 00000000D54C: 85143C24
	v_readlane_b32 s82, v3, 23                                 // 00000000D550: D2890052 00012F03
	s_and_b32 s82, s82, 0xffffff                               // 00000000D558: 8652FF52 00FFFFFF
	s_cmp_lt_u32 s82, s66                                      // 00000000D560: BF0A4252
	s_cselect_b32 s21, s36, s60                                // 00000000D564: 85153C24
	s_mov_b64 exec, s[20:21]                                   // 00000000D568: BEFE0114
	global_atomic_add_f32 v6, v109, s[8:9]                     // 00000000D56C: DD348000 00086D06
	global_atomic_add_f32 v6, v113, s[8:9] offset:256          // 00000000D574: DD348100 00087106
	s_mov_b64 exec, s[36:37]                                   // 00000000D57C: BEFE0124
	ds_write_b64 v20, v[70:71]                                 // 00000000D580: D89A0000 00004614
	ds_write_b64 v20, v[74:75] offset:4352                     // 00000000D588: D89A1100 00004A14
	ds_write_b64 v20, v[78:79] offset:8704                     // 00000000D590: D89A2200 00004E14
	ds_write_b64 v20, v[82:83] offset:13056                    // 00000000D598: D89A3300 00005214
	ds_write_b64 v20, v[86:87] offset:17408                    // 00000000D5A0: D89A4400 00005614
	ds_write_b64 v20, v[90:91] offset:21760                    // 00000000D5A8: D89A5500 00005A14
	ds_write_b64 v20, v[94:95] offset:2176                     // 00000000D5B0: D89A0880 00005E14
	ds_write_b64 v20, v[98:99] offset:6528                     // 00000000D5B8: D89A1980 00006214
	ds_write_b64 v20, v[102:103] offset:10880                  // 00000000D5C0: D89A2A80 00006614
	ds_write_b64 v20, v[106:107] offset:15232                  // 00000000D5C8: D89A3B80 00006A14
	ds_write_b64 v20, v[110:111] offset:19584                  // 00000000D5D0: D89A4C80 00006E14
	ds_write_b64 v20, v[114:115] offset:23936                  // 00000000D5D8: D89A5D80 00007214
	s_waitcnt lgkmcnt(0)                                       // 00000000D5E0: BF8CC07F
	s_barrier                                                  // 00000000D5E4: BF8A0000
	ds_read_b32 v70, v21                                       // 00000000D5E8: D86C0000 46000015
	ds_read_b32 v71, v21 offset:64                             // 00000000D5F0: D86C0040 47000015
	ds_read_b32 v74, v21 offset:2176                           // 00000000D5F8: D86C0880 4A000015
	ds_read_b32 v75, v21 offset:2240                           // 00000000D600: D86C08C0 4B000015
	ds_read_b32 v78, v21 offset:4352                           // 00000000D608: D86C1100 4E000015
	ds_read_b32 v79, v21 offset:4416                           // 00000000D610: D86C1140 4F000015
	ds_read_b32 v82, v21 offset:6528                           // 00000000D618: D86C1980 52000015
	ds_read_b32 v83, v21 offset:6592                           // 00000000D620: D86C19C0 53000015
	ds_read_b32 v86, v21 offset:8704                           // 00000000D628: D86C2200 56000015
	ds_read_b32 v87, v21 offset:8768                           // 00000000D630: D86C2240 57000015
	ds_read_b32 v90, v21 offset:10880                          // 00000000D638: D86C2A80 5A000015
	ds_read_b32 v91, v21 offset:10944                          // 00000000D640: D86C2AC0 5B000015
	ds_read_b32 v94, v21 offset:13056                          // 00000000D648: D86C3300 5E000015
	ds_read_b32 v95, v21 offset:13120                          // 00000000D650: D86C3340 5F000015
	ds_read_b32 v98, v21 offset:15232                          // 00000000D658: D86C3B80 62000015
	ds_read_b32 v99, v21 offset:15296                          // 00000000D660: D86C3BC0 63000015
	ds_read_b32 v102, v21 offset:17408                         // 00000000D668: D86C4400 66000015
	ds_read_b32 v103, v21 offset:17472                         // 00000000D670: D86C4440 67000015
	ds_read_b32 v106, v21 offset:19584                         // 00000000D678: D86C4C80 6A000015
	ds_read_b32 v107, v21 offset:19648                         // 00000000D680: D86C4CC0 6B000015
	ds_read_b32 v110, v21 offset:21760                         // 00000000D688: D86C5500 6E000015
	ds_read_b32 v111, v21 offset:21824                         // 00000000D690: D86C5540 6F000015
	ds_read_b32 v114, v21 offset:23936                         // 00000000D698: D86C5D80 72000015
	ds_read_b32 v115, v21 offset:24000                         // 00000000D6A0: D86C5DC0 73000015
	s_waitcnt lgkmcnt(0)                                       // 00000000D6A8: BF8CC07F
	v_mov_b32_e32 v7, 0                                        // 00000000D6AC: 7E0E0280
	s_mov_b64 exec, s[36:37]                                   // 00000000D6B0: BEFE0124
	v_mov_b32_e32 v6, v54                                      // 00000000D6B4: 7E0C0336
	s_mov_b64 s[60:61], 0                                      // 00000000D6B8: BEBC0180
	v_readlane_b32 s82, v3, 0                                  // 00000000D6BC: D2890052 00010103
	s_and_b32 s82, s82, 0xffffff                               // 00000000D6C4: 8652FF52 00FFFFFF
	s_cmp_lt_u32 s82, s66                                      // 00000000D6CC: BF0A4252
	s_cselect_b32 s20, s36, s60                                // 00000000D6D0: 85143C24
	v_readlane_b32 s82, v3, 1                                  // 00000000D6D4: D2890052 00010303
	s_and_b32 s82, s82, 0xffffff                               // 00000000D6DC: 8652FF52 00FFFFFF
	s_cmp_lt_u32 s82, s66                                      // 00000000D6E4: BF0A4252
	s_cselect_b32 s21, s36, s60                                // 00000000D6E8: 85153C24
	s_mov_b64 exec, s[20:21]                                   // 00000000D6EC: BEFE0114
	global_atomic_add_f32 v6, v70, s[8:9] offset:8             // 00000000D6F0: DD348008 00084606
	global_atomic_add_f32 v6, v74, s[8:9] offset:264           // 00000000D6F8: DD348108 00084A06
	s_mov_b64 exec, s[36:37]                                   // 00000000D700: BEFE0124
	v_mov_b32_e32 v6, v55                                      // 00000000D704: 7E0C0337
	s_mov_b64 s[60:61], 0                                      // 00000000D708: BEBC0180
	v_readlane_b32 s82, v3, 2                                  // 00000000D70C: D2890052 00010503
	s_and_b32 s82, s82, 0xffffff                               // 00000000D714: 8652FF52 00FFFFFF
	s_cmp_lt_u32 s82, s66                                      // 00000000D71C: BF0A4252
	s_cselect_b32 s20, s36, s60                                // 00000000D720: 85143C24
	v_readlane_b32 s82, v3, 3                                  // 00000000D724: D2890052 00010703
	s_and_b32 s82, s82, 0xffffff                               // 00000000D72C: 8652FF52 00FFFFFF
	s_cmp_lt_u32 s82, s66                                      // 00000000D734: BF0A4252
	s_cselect_b32 s21, s36, s60                                // 00000000D738: 85153C24
	s_mov_b64 exec, s[20:21]                                   // 00000000D73C: BEFE0114
	global_atomic_add_f32 v6, v71, s[8:9] offset:8             // 00000000D740: DD348008 00084706
	global_atomic_add_f32 v6, v75, s[8:9] offset:264           // 00000000D748: DD348108 00084B06
	s_mov_b64 exec, s[36:37]                                   // 00000000D750: BEFE0124
	v_mov_b32_e32 v6, v56                                      // 00000000D754: 7E0C0338
	s_mov_b64 s[60:61], 0                                      // 00000000D758: BEBC0180
	v_readlane_b32 s82, v3, 4                                  // 00000000D75C: D2890052 00010903
	s_and_b32 s82, s82, 0xffffff                               // 00000000D764: 8652FF52 00FFFFFF
	s_cmp_lt_u32 s82, s66                                      // 00000000D76C: BF0A4252
	s_cselect_b32 s20, s36, s60                                // 00000000D770: 85143C24
	v_readlane_b32 s82, v3, 5                                  // 00000000D774: D2890052 00010B03
	s_and_b32 s82, s82, 0xffffff                               // 00000000D77C: 8652FF52 00FFFFFF
	s_cmp_lt_u32 s82, s66                                      // 00000000D784: BF0A4252
	s_cselect_b32 s21, s36, s60                                // 00000000D788: 85153C24
	s_mov_b64 exec, s[20:21]                                   // 00000000D78C: BEFE0114
	global_atomic_add_f32 v6, v78, s[8:9] offset:8             // 00000000D790: DD348008 00084E06
	global_atomic_add_f32 v6, v82, s[8:9] offset:264           // 00000000D798: DD348108 00085206
	s_mov_b64 exec, s[36:37]                                   // 00000000D7A0: BEFE0124
	v_mov_b32_e32 v6, v57                                      // 00000000D7A4: 7E0C0339
	s_mov_b64 s[60:61], 0                                      // 00000000D7A8: BEBC0180
	v_readlane_b32 s82, v3, 6                                  // 00000000D7AC: D2890052 00010D03
	s_and_b32 s82, s82, 0xffffff                               // 00000000D7B4: 8652FF52 00FFFFFF
	s_cmp_lt_u32 s82, s66                                      // 00000000D7BC: BF0A4252
	s_cselect_b32 s20, s36, s60                                // 00000000D7C0: 85143C24
	v_readlane_b32 s82, v3, 7                                  // 00000000D7C4: D2890052 00010F03
	s_and_b32 s82, s82, 0xffffff                               // 00000000D7CC: 8652FF52 00FFFFFF
	s_cmp_lt_u32 s82, s66                                      // 00000000D7D4: BF0A4252
	s_cselect_b32 s21, s36, s60                                // 00000000D7D8: 85153C24
	s_mov_b64 exec, s[20:21]                                   // 00000000D7DC: BEFE0114
	global_atomic_add_f32 v6, v79, s[8:9] offset:8             // 00000000D7E0: DD348008 00084F06
	global_atomic_add_f32 v6, v83, s[8:9] offset:264           // 00000000D7E8: DD348108 00085306
	s_mov_b64 exec, s[36:37]                                   // 00000000D7F0: BEFE0124
	v_mov_b32_e32 v6, v58                                      // 00000000D7F4: 7E0C033A
	s_mov_b64 s[60:61], 0                                      // 00000000D7F8: BEBC0180
	v_readlane_b32 s82, v3, 8                                  // 00000000D7FC: D2890052 00011103
	s_and_b32 s82, s82, 0xffffff                               // 00000000D804: 8652FF52 00FFFFFF
	s_cmp_lt_u32 s82, s66                                      // 00000000D80C: BF0A4252
	s_cselect_b32 s20, s36, s60                                // 00000000D810: 85143C24
	v_readlane_b32 s82, v3, 9                                  // 00000000D814: D2890052 00011303
	s_and_b32 s82, s82, 0xffffff                               // 00000000D81C: 8652FF52 00FFFFFF
	s_cmp_lt_u32 s82, s66                                      // 00000000D824: BF0A4252
	s_cselect_b32 s21, s36, s60                                // 00000000D828: 85153C24
	s_mov_b64 exec, s[20:21]                                   // 00000000D82C: BEFE0114
	global_atomic_add_f32 v6, v86, s[8:9] offset:8             // 00000000D830: DD348008 00085606
	global_atomic_add_f32 v6, v90, s[8:9] offset:264           // 00000000D838: DD348108 00085A06
	s_mov_b64 exec, s[36:37]                                   // 00000000D840: BEFE0124
	v_mov_b32_e32 v6, v59                                      // 00000000D844: 7E0C033B
	s_mov_b64 s[60:61], 0                                      // 00000000D848: BEBC0180
	v_readlane_b32 s82, v3, 10                                 // 00000000D84C: D2890052 00011503
	s_and_b32 s82, s82, 0xffffff                               // 00000000D854: 8652FF52 00FFFFFF
	s_cmp_lt_u32 s82, s66                                      // 00000000D85C: BF0A4252
	s_cselect_b32 s20, s36, s60                                // 00000000D860: 85143C24
	v_readlane_b32 s82, v3, 11                                 // 00000000D864: D2890052 00011703
	s_and_b32 s82, s82, 0xffffff                               // 00000000D86C: 8652FF52 00FFFFFF
	s_cmp_lt_u32 s82, s66                                      // 00000000D874: BF0A4252
	s_cselect_b32 s21, s36, s60                                // 00000000D878: 85153C24
	s_mov_b64 exec, s[20:21]                                   // 00000000D87C: BEFE0114
	global_atomic_add_f32 v6, v87, s[8:9] offset:8             // 00000000D880: DD348008 00085706
	global_atomic_add_f32 v6, v91, s[8:9] offset:264           // 00000000D888: DD348108 00085B06
	s_mov_b64 exec, s[36:37]                                   // 00000000D890: BEFE0124
	v_mov_b32_e32 v6, v60                                      // 00000000D894: 7E0C033C
	s_mov_b64 s[60:61], 0                                      // 00000000D898: BEBC0180
	v_readlane_b32 s82, v3, 12                                 // 00000000D89C: D2890052 00011903
	s_and_b32 s82, s82, 0xffffff                               // 00000000D8A4: 8652FF52 00FFFFFF
	s_cmp_lt_u32 s82, s66                                      // 00000000D8AC: BF0A4252
	s_cselect_b32 s20, s36, s60                                // 00000000D8B0: 85143C24
	v_readlane_b32 s82, v3, 13                                 // 00000000D8B4: D2890052 00011B03
	s_and_b32 s82, s82, 0xffffff                               // 00000000D8BC: 8652FF52 00FFFFFF
	s_cmp_lt_u32 s82, s66                                      // 00000000D8C4: BF0A4252
	s_cselect_b32 s21, s36, s60                                // 00000000D8C8: 85153C24
	s_mov_b64 exec, s[20:21]                                   // 00000000D8CC: BEFE0114
	global_atomic_add_f32 v6, v94, s[8:9] offset:8             // 00000000D8D0: DD348008 00085E06
	global_atomic_add_f32 v6, v98, s[8:9] offset:264           // 00000000D8D8: DD348108 00086206
	s_mov_b64 exec, s[36:37]                                   // 00000000D8E0: BEFE0124
	v_mov_b32_e32 v6, v61                                      // 00000000D8E4: 7E0C033D
	s_mov_b64 s[60:61], 0                                      // 00000000D8E8: BEBC0180
	v_readlane_b32 s82, v3, 14                                 // 00000000D8EC: D2890052 00011D03
	s_and_b32 s82, s82, 0xffffff                               // 00000000D8F4: 8652FF52 00FFFFFF
	s_cmp_lt_u32 s82, s66                                      // 00000000D8FC: BF0A4252
	s_cselect_b32 s20, s36, s60                                // 00000000D900: 85143C24
	v_readlane_b32 s82, v3, 15                                 // 00000000D904: D2890052 00011F03
	s_and_b32 s82, s82, 0xffffff                               // 00000000D90C: 8652FF52 00FFFFFF
	s_cmp_lt_u32 s82, s66                                      // 00000000D914: BF0A4252
	s_cselect_b32 s21, s36, s60                                // 00000000D918: 85153C24
	s_mov_b64 exec, s[20:21]                                   // 00000000D91C: BEFE0114
	global_atomic_add_f32 v6, v95, s[8:9] offset:8             // 00000000D920: DD348008 00085F06
	global_atomic_add_f32 v6, v99, s[8:9] offset:264           // 00000000D928: DD348108 00086306
	s_mov_b64 exec, s[36:37]                                   // 00000000D930: BEFE0124
	v_mov_b32_e32 v6, v62                                      // 00000000D934: 7E0C033E
	s_mov_b64 s[60:61], 0                                      // 00000000D938: BEBC0180
	v_readlane_b32 s82, v3, 16                                 // 00000000D93C: D2890052 00012103
	s_and_b32 s82, s82, 0xffffff                               // 00000000D944: 8652FF52 00FFFFFF
	s_cmp_lt_u32 s82, s66                                      // 00000000D94C: BF0A4252
	s_cselect_b32 s20, s36, s60                                // 00000000D950: 85143C24
	v_readlane_b32 s82, v3, 17                                 // 00000000D954: D2890052 00012303
	s_and_b32 s82, s82, 0xffffff                               // 00000000D95C: 8652FF52 00FFFFFF
	s_cmp_lt_u32 s82, s66                                      // 00000000D964: BF0A4252
	s_cselect_b32 s21, s36, s60                                // 00000000D968: 85153C24
	s_mov_b64 exec, s[20:21]                                   // 00000000D96C: BEFE0114
	global_atomic_add_f32 v6, v102, s[8:9] offset:8            // 00000000D970: DD348008 00086606
	global_atomic_add_f32 v6, v106, s[8:9] offset:264          // 00000000D978: DD348108 00086A06
	s_mov_b64 exec, s[36:37]                                   // 00000000D980: BEFE0124
	v_mov_b32_e32 v6, v63                                      // 00000000D984: 7E0C033F
	s_mov_b64 s[60:61], 0                                      // 00000000D988: BEBC0180
	v_readlane_b32 s82, v3, 18                                 // 00000000D98C: D2890052 00012503
	s_and_b32 s82, s82, 0xffffff                               // 00000000D994: 8652FF52 00FFFFFF
	s_cmp_lt_u32 s82, s66                                      // 00000000D99C: BF0A4252
	s_cselect_b32 s20, s36, s60                                // 00000000D9A0: 85143C24
	v_readlane_b32 s82, v3, 19                                 // 00000000D9A4: D2890052 00012703
	s_and_b32 s82, s82, 0xffffff                               // 00000000D9AC: 8652FF52 00FFFFFF
	s_cmp_lt_u32 s82, s66                                      // 00000000D9B4: BF0A4252
	s_cselect_b32 s21, s36, s60                                // 00000000D9B8: 85153C24
	s_mov_b64 exec, s[20:21]                                   // 00000000D9BC: BEFE0114
	global_atomic_add_f32 v6, v103, s[8:9] offset:8            // 00000000D9C0: DD348008 00086706
	global_atomic_add_f32 v6, v107, s[8:9] offset:264          // 00000000D9C8: DD348108 00086B06
	s_mov_b64 exec, s[36:37]                                   // 00000000D9D0: BEFE0124
	v_mov_b32_e32 v6, v64                                      // 00000000D9D4: 7E0C0340
	s_mov_b64 s[60:61], 0                                      // 00000000D9D8: BEBC0180
	v_readlane_b32 s82, v3, 20                                 // 00000000D9DC: D2890052 00012903
	s_and_b32 s82, s82, 0xffffff                               // 00000000D9E4: 8652FF52 00FFFFFF
	s_cmp_lt_u32 s82, s66                                      // 00000000D9EC: BF0A4252
	s_cselect_b32 s20, s36, s60                                // 00000000D9F0: 85143C24
	v_readlane_b32 s82, v3, 21                                 // 00000000D9F4: D2890052 00012B03
	s_and_b32 s82, s82, 0xffffff                               // 00000000D9FC: 8652FF52 00FFFFFF
	s_cmp_lt_u32 s82, s66                                      // 00000000DA04: BF0A4252
	s_cselect_b32 s21, s36, s60                                // 00000000DA08: 85153C24
	s_mov_b64 exec, s[20:21]                                   // 00000000DA0C: BEFE0114
	global_atomic_add_f32 v6, v110, s[8:9] offset:8            // 00000000DA10: DD348008 00086E06
	global_atomic_add_f32 v6, v114, s[8:9] offset:264          // 00000000DA18: DD348108 00087206
	s_mov_b64 exec, s[36:37]                                   // 00000000DA20: BEFE0124
	v_mov_b32_e32 v6, v65                                      // 00000000DA24: 7E0C0341
	s_mov_b64 s[60:61], 0                                      // 00000000DA28: BEBC0180
	v_readlane_b32 s82, v3, 22                                 // 00000000DA2C: D2890052 00012D03
	s_and_b32 s82, s82, 0xffffff                               // 00000000DA34: 8652FF52 00FFFFFF
	s_cmp_lt_u32 s82, s66                                      // 00000000DA3C: BF0A4252
	s_cselect_b32 s20, s36, s60                                // 00000000DA40: 85143C24
	v_readlane_b32 s82, v3, 23                                 // 00000000DA44: D2890052 00012F03
	s_and_b32 s82, s82, 0xffffff                               // 00000000DA4C: 8652FF52 00FFFFFF
	s_cmp_lt_u32 s82, s66                                      // 00000000DA54: BF0A4252
	s_cselect_b32 s21, s36, s60                                // 00000000DA58: 85153C24
	s_mov_b64 exec, s[20:21]                                   // 00000000DA5C: BEFE0114
	global_atomic_add_f32 v6, v111, s[8:9] offset:8            // 00000000DA60: DD348008 00086F06
	global_atomic_add_f32 v6, v115, s[8:9] offset:264          // 00000000DA68: DD348108 00087306
	s_mov_b64 exec, s[36:37]                                   // 00000000DA70: BEFE0124
	ds_write_b64 v20, v[116:117]                               // 00000000DA74: D89A0000 00007414
	ds_write_b64 v20, v[120:121] offset:4352                   // 00000000DA7C: D89A1100 00007814
	ds_write_b64 v20, v[124:125] offset:8704                   // 00000000DA84: D89A2200 00007C14
	ds_write_b64 v20, v[128:129] offset:13056                  // 00000000DA8C: D89A3300 00008014
	ds_write_b64 v20, v[132:133] offset:17408                  // 00000000DA94: D89A4400 00008414
	ds_write_b64 v20, v[136:137] offset:21760                  // 00000000DA9C: D89A5500 00008814
	ds_write_b64 v20, v[140:141] offset:2176                   // 00000000DAA4: D89A0880 00008C14
	ds_write_b64 v20, v[144:145] offset:6528                   // 00000000DAAC: D89A1980 00009014
	ds_write_b64 v20, v[148:149] offset:10880                  // 00000000DAB4: D89A2A80 00009414
	ds_write_b64 v20, v[152:153] offset:15232                  // 00000000DABC: D89A3B80 00009814
	ds_write_b64 v20, v[156:157] offset:19584                  // 00000000DAC4: D89A4C80 00009C14
	ds_write_b64 v20, v[160:161] offset:23936                  // 00000000DACC: D89A5D80 0000A014
	s_waitcnt lgkmcnt(0)                                       // 00000000DAD4: BF8CC07F
	s_barrier                                                  // 00000000DAD8: BF8A0000
	ds_read_b32 v116, v21                                      // 00000000DADC: D86C0000 74000015
	ds_read_b32 v117, v21 offset:64                            // 00000000DAE4: D86C0040 75000015
	ds_read_b32 v120, v21 offset:2176                          // 00000000DAEC: D86C0880 78000015
	ds_read_b32 v121, v21 offset:2240                          // 00000000DAF4: D86C08C0 79000015
	ds_read_b32 v124, v21 offset:4352                          // 00000000DAFC: D86C1100 7C000015
	ds_read_b32 v125, v21 offset:4416                          // 00000000DB04: D86C1140 7D000015
	ds_read_b32 v128, v21 offset:6528                          // 00000000DB0C: D86C1980 80000015
	ds_read_b32 v129, v21 offset:6592                          // 00000000DB14: D86C19C0 81000015
	ds_read_b32 v132, v21 offset:8704                          // 00000000DB1C: D86C2200 84000015
	ds_read_b32 v133, v21 offset:8768                          // 00000000DB24: D86C2240 85000015
	ds_read_b32 v136, v21 offset:10880                         // 00000000DB2C: D86C2A80 88000015
	ds_read_b32 v137, v21 offset:10944                         // 00000000DB34: D86C2AC0 89000015
	ds_read_b32 v140, v21 offset:13056                         // 00000000DB3C: D86C3300 8C000015
	ds_read_b32 v141, v21 offset:13120                         // 00000000DB44: D86C3340 8D000015
	ds_read_b32 v144, v21 offset:15232                         // 00000000DB4C: D86C3B80 90000015
	ds_read_b32 v145, v21 offset:15296                         // 00000000DB54: D86C3BC0 91000015
	ds_read_b32 v148, v21 offset:17408                         // 00000000DB5C: D86C4400 94000015
	ds_read_b32 v149, v21 offset:17472                         // 00000000DB64: D86C4440 95000015
	ds_read_b32 v152, v21 offset:19584                         // 00000000DB6C: D86C4C80 98000015
	ds_read_b32 v153, v21 offset:19648                         // 00000000DB74: D86C4CC0 99000015
	ds_read_b32 v156, v21 offset:21760                         // 00000000DB7C: D86C5500 9C000015
	ds_read_b32 v157, v21 offset:21824                         // 00000000DB84: D86C5540 9D000015
	ds_read_b32 v160, v21 offset:23936                         // 00000000DB8C: D86C5D80 A0000015
	ds_read_b32 v161, v21 offset:24000                         // 00000000DB94: D86C5DC0 A1000015
	s_mul_i32 s60, s65, 4                                      // 00000000DB9C: 923C8441
	s_add_u32 s8, s60, s8                                      // 00000000DBA0: 8008083C
	s_addc_u32 s9, 0, s9                                       // 00000000DBA4: 82090980
	s_waitcnt lgkmcnt(0)                                       // 00000000DBA8: BF8CC07F
	v_mov_b32_e32 v7, 0                                        // 00000000DBAC: 7E0E0280
	s_mov_b64 exec, s[36:37]                                   // 00000000DBB0: BEFE0124
	v_mov_b32_e32 v6, v54                                      // 00000000DBB4: 7E0C0336
	s_mov_b64 s[60:61], 0                                      // 00000000DBB8: BEBC0180
	v_readlane_b32 s82, v3, 0                                  // 00000000DBBC: D2890052 00010103
	s_and_b32 s82, s82, 0xffffff                               // 00000000DBC4: 8652FF52 00FFFFFF
	s_cmp_lt_u32 s82, s66                                      // 00000000DBCC: BF0A4252
	s_cselect_b32 s20, s36, s60                                // 00000000DBD0: 85143C24
	v_readlane_b32 s82, v3, 1                                  // 00000000DBD4: D2890052 00010303
	s_and_b32 s82, s82, 0xffffff                               // 00000000DBDC: 8652FF52 00FFFFFF
	s_cmp_lt_u32 s82, s66                                      // 00000000DBE4: BF0A4252
	s_cselect_b32 s21, s36, s60                                // 00000000DBE8: 85153C24
	s_mov_b64 exec, s[20:21]                                   // 00000000DBEC: BEFE0114
	global_atomic_add_f32 v6, v116, s[8:9]                     // 00000000DBF0: DD348000 00087406
	global_atomic_add_f32 v6, v120, s[8:9] offset:256          // 00000000DBF8: DD348100 00087806
	s_mov_b64 exec, s[36:37]                                   // 00000000DC00: BEFE0124
	v_mov_b32_e32 v6, v55                                      // 00000000DC04: 7E0C0337
	s_mov_b64 s[60:61], 0                                      // 00000000DC08: BEBC0180
	v_readlane_b32 s82, v3, 2                                  // 00000000DC0C: D2890052 00010503
	s_and_b32 s82, s82, 0xffffff                               // 00000000DC14: 8652FF52 00FFFFFF
	s_cmp_lt_u32 s82, s66                                      // 00000000DC1C: BF0A4252
	s_cselect_b32 s20, s36, s60                                // 00000000DC20: 85143C24
	v_readlane_b32 s82, v3, 3                                  // 00000000DC24: D2890052 00010703
	s_and_b32 s82, s82, 0xffffff                               // 00000000DC2C: 8652FF52 00FFFFFF
	s_cmp_lt_u32 s82, s66                                      // 00000000DC34: BF0A4252
	s_cselect_b32 s21, s36, s60                                // 00000000DC38: 85153C24
	s_mov_b64 exec, s[20:21]                                   // 00000000DC3C: BEFE0114
	global_atomic_add_f32 v6, v117, s[8:9]                     // 00000000DC40: DD348000 00087506
	global_atomic_add_f32 v6, v121, s[8:9] offset:256          // 00000000DC48: DD348100 00087906
	s_mov_b64 exec, s[36:37]                                   // 00000000DC50: BEFE0124
	v_mov_b32_e32 v6, v56                                      // 00000000DC54: 7E0C0338
	s_mov_b64 s[60:61], 0                                      // 00000000DC58: BEBC0180
	v_readlane_b32 s82, v3, 4                                  // 00000000DC5C: D2890052 00010903
	s_and_b32 s82, s82, 0xffffff                               // 00000000DC64: 8652FF52 00FFFFFF
	s_cmp_lt_u32 s82, s66                                      // 00000000DC6C: BF0A4252
	s_cselect_b32 s20, s36, s60                                // 00000000DC70: 85143C24
	v_readlane_b32 s82, v3, 5                                  // 00000000DC74: D2890052 00010B03
	s_and_b32 s82, s82, 0xffffff                               // 00000000DC7C: 8652FF52 00FFFFFF
	s_cmp_lt_u32 s82, s66                                      // 00000000DC84: BF0A4252
	s_cselect_b32 s21, s36, s60                                // 00000000DC88: 85153C24
	s_mov_b64 exec, s[20:21]                                   // 00000000DC8C: BEFE0114
	global_atomic_add_f32 v6, v124, s[8:9]                     // 00000000DC90: DD348000 00087C06
	global_atomic_add_f32 v6, v128, s[8:9] offset:256          // 00000000DC98: DD348100 00088006
	s_mov_b64 exec, s[36:37]                                   // 00000000DCA0: BEFE0124
	v_mov_b32_e32 v6, v57                                      // 00000000DCA4: 7E0C0339
	s_mov_b64 s[60:61], 0                                      // 00000000DCA8: BEBC0180
	v_readlane_b32 s82, v3, 6                                  // 00000000DCAC: D2890052 00010D03
	s_and_b32 s82, s82, 0xffffff                               // 00000000DCB4: 8652FF52 00FFFFFF
	s_cmp_lt_u32 s82, s66                                      // 00000000DCBC: BF0A4252
	s_cselect_b32 s20, s36, s60                                // 00000000DCC0: 85143C24
	v_readlane_b32 s82, v3, 7                                  // 00000000DCC4: D2890052 00010F03
	s_and_b32 s82, s82, 0xffffff                               // 00000000DCCC: 8652FF52 00FFFFFF
	s_cmp_lt_u32 s82, s66                                      // 00000000DCD4: BF0A4252
	s_cselect_b32 s21, s36, s60                                // 00000000DCD8: 85153C24
	s_mov_b64 exec, s[20:21]                                   // 00000000DCDC: BEFE0114
	global_atomic_add_f32 v6, v125, s[8:9]                     // 00000000DCE0: DD348000 00087D06
	global_atomic_add_f32 v6, v129, s[8:9] offset:256          // 00000000DCE8: DD348100 00088106
	s_mov_b64 exec, s[36:37]                                   // 00000000DCF0: BEFE0124
	v_mov_b32_e32 v6, v58                                      // 00000000DCF4: 7E0C033A
	s_mov_b64 s[60:61], 0                                      // 00000000DCF8: BEBC0180
	v_readlane_b32 s82, v3, 8                                  // 00000000DCFC: D2890052 00011103
	s_and_b32 s82, s82, 0xffffff                               // 00000000DD04: 8652FF52 00FFFFFF
	s_cmp_lt_u32 s82, s66                                      // 00000000DD0C: BF0A4252
	s_cselect_b32 s20, s36, s60                                // 00000000DD10: 85143C24
	v_readlane_b32 s82, v3, 9                                  // 00000000DD14: D2890052 00011303
	s_and_b32 s82, s82, 0xffffff                               // 00000000DD1C: 8652FF52 00FFFFFF
	s_cmp_lt_u32 s82, s66                                      // 00000000DD24: BF0A4252
	s_cselect_b32 s21, s36, s60                                // 00000000DD28: 85153C24
	s_mov_b64 exec, s[20:21]                                   // 00000000DD2C: BEFE0114
	global_atomic_add_f32 v6, v132, s[8:9]                     // 00000000DD30: DD348000 00088406
	global_atomic_add_f32 v6, v136, s[8:9] offset:256          // 00000000DD38: DD348100 00088806
	s_mov_b64 exec, s[36:37]                                   // 00000000DD40: BEFE0124
	v_mov_b32_e32 v6, v59                                      // 00000000DD44: 7E0C033B
	s_mov_b64 s[60:61], 0                                      // 00000000DD48: BEBC0180
	v_readlane_b32 s82, v3, 10                                 // 00000000DD4C: D2890052 00011503
	s_and_b32 s82, s82, 0xffffff                               // 00000000DD54: 8652FF52 00FFFFFF
	s_cmp_lt_u32 s82, s66                                      // 00000000DD5C: BF0A4252
	s_cselect_b32 s20, s36, s60                                // 00000000DD60: 85143C24
	v_readlane_b32 s82, v3, 11                                 // 00000000DD64: D2890052 00011703
	s_and_b32 s82, s82, 0xffffff                               // 00000000DD6C: 8652FF52 00FFFFFF
	s_cmp_lt_u32 s82, s66                                      // 00000000DD74: BF0A4252
	s_cselect_b32 s21, s36, s60                                // 00000000DD78: 85153C24
	s_mov_b64 exec, s[20:21]                                   // 00000000DD7C: BEFE0114
	global_atomic_add_f32 v6, v133, s[8:9]                     // 00000000DD80: DD348000 00088506
	global_atomic_add_f32 v6, v137, s[8:9] offset:256          // 00000000DD88: DD348100 00088906
	s_mov_b64 exec, s[36:37]                                   // 00000000DD90: BEFE0124
	v_mov_b32_e32 v6, v60                                      // 00000000DD94: 7E0C033C
	s_mov_b64 s[60:61], 0                                      // 00000000DD98: BEBC0180
	v_readlane_b32 s82, v3, 12                                 // 00000000DD9C: D2890052 00011903
	s_and_b32 s82, s82, 0xffffff                               // 00000000DDA4: 8652FF52 00FFFFFF
	s_cmp_lt_u32 s82, s66                                      // 00000000DDAC: BF0A4252
	s_cselect_b32 s20, s36, s60                                // 00000000DDB0: 85143C24
	v_readlane_b32 s82, v3, 13                                 // 00000000DDB4: D2890052 00011B03
	s_and_b32 s82, s82, 0xffffff                               // 00000000DDBC: 8652FF52 00FFFFFF
	s_cmp_lt_u32 s82, s66                                      // 00000000DDC4: BF0A4252
	s_cselect_b32 s21, s36, s60                                // 00000000DDC8: 85153C24
	s_mov_b64 exec, s[20:21]                                   // 00000000DDCC: BEFE0114
	global_atomic_add_f32 v6, v140, s[8:9]                     // 00000000DDD0: DD348000 00088C06
	global_atomic_add_f32 v6, v144, s[8:9] offset:256          // 00000000DDD8: DD348100 00089006
	s_mov_b64 exec, s[36:37]                                   // 00000000DDE0: BEFE0124
	v_mov_b32_e32 v6, v61                                      // 00000000DDE4: 7E0C033D
	s_mov_b64 s[60:61], 0                                      // 00000000DDE8: BEBC0180
	v_readlane_b32 s82, v3, 14                                 // 00000000DDEC: D2890052 00011D03
	s_and_b32 s82, s82, 0xffffff                               // 00000000DDF4: 8652FF52 00FFFFFF
	s_cmp_lt_u32 s82, s66                                      // 00000000DDFC: BF0A4252
	s_cselect_b32 s20, s36, s60                                // 00000000DE00: 85143C24
	v_readlane_b32 s82, v3, 15                                 // 00000000DE04: D2890052 00011F03
	s_and_b32 s82, s82, 0xffffff                               // 00000000DE0C: 8652FF52 00FFFFFF
	s_cmp_lt_u32 s82, s66                                      // 00000000DE14: BF0A4252
	s_cselect_b32 s21, s36, s60                                // 00000000DE18: 85153C24
	s_mov_b64 exec, s[20:21]                                   // 00000000DE1C: BEFE0114
	global_atomic_add_f32 v6, v141, s[8:9]                     // 00000000DE20: DD348000 00088D06
	global_atomic_add_f32 v6, v145, s[8:9] offset:256          // 00000000DE28: DD348100 00089106
	s_mov_b64 exec, s[36:37]                                   // 00000000DE30: BEFE0124
	v_mov_b32_e32 v6, v62                                      // 00000000DE34: 7E0C033E
	s_mov_b64 s[60:61], 0                                      // 00000000DE38: BEBC0180
	v_readlane_b32 s82, v3, 16                                 // 00000000DE3C: D2890052 00012103
	s_and_b32 s82, s82, 0xffffff                               // 00000000DE44: 8652FF52 00FFFFFF
	s_cmp_lt_u32 s82, s66                                      // 00000000DE4C: BF0A4252
	s_cselect_b32 s20, s36, s60                                // 00000000DE50: 85143C24
	v_readlane_b32 s82, v3, 17                                 // 00000000DE54: D2890052 00012303
	s_and_b32 s82, s82, 0xffffff                               // 00000000DE5C: 8652FF52 00FFFFFF
	s_cmp_lt_u32 s82, s66                                      // 00000000DE64: BF0A4252
	s_cselect_b32 s21, s36, s60                                // 00000000DE68: 85153C24
	s_mov_b64 exec, s[20:21]                                   // 00000000DE6C: BEFE0114
	global_atomic_add_f32 v6, v148, s[8:9]                     // 00000000DE70: DD348000 00089406
	global_atomic_add_f32 v6, v152, s[8:9] offset:256          // 00000000DE78: DD348100 00089806
	s_mov_b64 exec, s[36:37]                                   // 00000000DE80: BEFE0124
	v_mov_b32_e32 v6, v63                                      // 00000000DE84: 7E0C033F
	s_mov_b64 s[60:61], 0                                      // 00000000DE88: BEBC0180
	v_readlane_b32 s82, v3, 18                                 // 00000000DE8C: D2890052 00012503
	s_and_b32 s82, s82, 0xffffff                               // 00000000DE94: 8652FF52 00FFFFFF
	s_cmp_lt_u32 s82, s66                                      // 00000000DE9C: BF0A4252
	s_cselect_b32 s20, s36, s60                                // 00000000DEA0: 85143C24
	v_readlane_b32 s82, v3, 19                                 // 00000000DEA4: D2890052 00012703
	s_and_b32 s82, s82, 0xffffff                               // 00000000DEAC: 8652FF52 00FFFFFF
	s_cmp_lt_u32 s82, s66                                      // 00000000DEB4: BF0A4252
	s_cselect_b32 s21, s36, s60                                // 00000000DEB8: 85153C24
	s_mov_b64 exec, s[20:21]                                   // 00000000DEBC: BEFE0114
	global_atomic_add_f32 v6, v149, s[8:9]                     // 00000000DEC0: DD348000 00089506
	global_atomic_add_f32 v6, v153, s[8:9] offset:256          // 00000000DEC8: DD348100 00089906
	s_mov_b64 exec, s[36:37]                                   // 00000000DED0: BEFE0124
	v_mov_b32_e32 v6, v64                                      // 00000000DED4: 7E0C0340
	s_mov_b64 s[60:61], 0                                      // 00000000DED8: BEBC0180
	v_readlane_b32 s82, v3, 20                                 // 00000000DEDC: D2890052 00012903
	s_and_b32 s82, s82, 0xffffff                               // 00000000DEE4: 8652FF52 00FFFFFF
	s_cmp_lt_u32 s82, s66                                      // 00000000DEEC: BF0A4252
	s_cselect_b32 s20, s36, s60                                // 00000000DEF0: 85143C24
	v_readlane_b32 s82, v3, 21                                 // 00000000DEF4: D2890052 00012B03
	s_and_b32 s82, s82, 0xffffff                               // 00000000DEFC: 8652FF52 00FFFFFF
	s_cmp_lt_u32 s82, s66                                      // 00000000DF04: BF0A4252
	s_cselect_b32 s21, s36, s60                                // 00000000DF08: 85153C24
	s_mov_b64 exec, s[20:21]                                   // 00000000DF0C: BEFE0114
	global_atomic_add_f32 v6, v156, s[8:9]                     // 00000000DF10: DD348000 00089C06
	global_atomic_add_f32 v6, v160, s[8:9] offset:256          // 00000000DF18: DD348100 0008A006
	s_mov_b64 exec, s[36:37]                                   // 00000000DF20: BEFE0124
	v_mov_b32_e32 v6, v65                                      // 00000000DF24: 7E0C0341
	s_mov_b64 s[60:61], 0                                      // 00000000DF28: BEBC0180
	v_readlane_b32 s82, v3, 22                                 // 00000000DF2C: D2890052 00012D03
	s_and_b32 s82, s82, 0xffffff                               // 00000000DF34: 8652FF52 00FFFFFF
	s_cmp_lt_u32 s82, s66                                      // 00000000DF3C: BF0A4252
	s_cselect_b32 s20, s36, s60                                // 00000000DF40: 85143C24
	v_readlane_b32 s82, v3, 23                                 // 00000000DF44: D2890052 00012F03
	s_and_b32 s82, s82, 0xffffff                               // 00000000DF4C: 8652FF52 00FFFFFF
	s_cmp_lt_u32 s82, s66                                      // 00000000DF54: BF0A4252
	s_cselect_b32 s21, s36, s60                                // 00000000DF58: 85153C24
	s_mov_b64 exec, s[20:21]                                   // 00000000DF5C: BEFE0114
	global_atomic_add_f32 v6, v157, s[8:9]                     // 00000000DF60: DD348000 00089D06
	global_atomic_add_f32 v6, v161, s[8:9] offset:256          // 00000000DF68: DD348100 0008A106
	s_mov_b64 exec, s[36:37]                                   // 00000000DF70: BEFE0124
	ds_write_b64 v20, v[118:119]                               // 00000000DF74: D89A0000 00007614
	ds_write_b64 v20, v[122:123] offset:4352                   // 00000000DF7C: D89A1100 00007A14
	ds_write_b64 v20, v[126:127] offset:8704                   // 00000000DF84: D89A2200 00007E14
	ds_write_b64 v20, v[130:131] offset:13056                  // 00000000DF8C: D89A3300 00008214
	ds_write_b64 v20, v[134:135] offset:17408                  // 00000000DF94: D89A4400 00008614
	ds_write_b64 v20, v[138:139] offset:21760                  // 00000000DF9C: D89A5500 00008A14
	ds_write_b64 v20, v[142:143] offset:2176                   // 00000000DFA4: D89A0880 00008E14
	ds_write_b64 v20, v[146:147] offset:6528                   // 00000000DFAC: D89A1980 00009214
	ds_write_b64 v20, v[150:151] offset:10880                  // 00000000DFB4: D89A2A80 00009614
	ds_write_b64 v20, v[154:155] offset:15232                  // 00000000DFBC: D89A3B80 00009A14
	ds_write_b64 v20, v[158:159] offset:19584                  // 00000000DFC4: D89A4C80 00009E14
	ds_write_b64 v20, v[162:163] offset:23936                  // 00000000DFCC: D89A5D80 0000A214
	s_waitcnt lgkmcnt(0)                                       // 00000000DFD4: BF8CC07F
	s_barrier                                                  // 00000000DFD8: BF8A0000
	ds_read_b32 v118, v21                                      // 00000000DFDC: D86C0000 76000015
	ds_read_b32 v119, v21 offset:64                            // 00000000DFE4: D86C0040 77000015
	ds_read_b32 v122, v21 offset:2176                          // 00000000DFEC: D86C0880 7A000015
	ds_read_b32 v123, v21 offset:2240                          // 00000000DFF4: D86C08C0 7B000015
	ds_read_b32 v126, v21 offset:4352                          // 00000000DFFC: D86C1100 7E000015
	ds_read_b32 v127, v21 offset:4416                          // 00000000E004: D86C1140 7F000015
	ds_read_b32 v130, v21 offset:6528                          // 00000000E00C: D86C1980 82000015
	ds_read_b32 v131, v21 offset:6592                          // 00000000E014: D86C19C0 83000015
	ds_read_b32 v134, v21 offset:8704                          // 00000000E01C: D86C2200 86000015
	ds_read_b32 v135, v21 offset:8768                          // 00000000E024: D86C2240 87000015
	ds_read_b32 v138, v21 offset:10880                         // 00000000E02C: D86C2A80 8A000015
	ds_read_b32 v139, v21 offset:10944                         // 00000000E034: D86C2AC0 8B000015
	ds_read_b32 v142, v21 offset:13056                         // 00000000E03C: D86C3300 8E000015
	ds_read_b32 v143, v21 offset:13120                         // 00000000E044: D86C3340 8F000015
	ds_read_b32 v146, v21 offset:15232                         // 00000000E04C: D86C3B80 92000015
	ds_read_b32 v147, v21 offset:15296                         // 00000000E054: D86C3BC0 93000015
	ds_read_b32 v150, v21 offset:17408                         // 00000000E05C: D86C4400 96000015
	ds_read_b32 v151, v21 offset:17472                         // 00000000E064: D86C4440 97000015
	ds_read_b32 v154, v21 offset:19584                         // 00000000E06C: D86C4C80 9A000015
	ds_read_b32 v155, v21 offset:19648                         // 00000000E074: D86C4CC0 9B000015
	ds_read_b32 v158, v21 offset:21760                         // 00000000E07C: D86C5500 9E000015
	ds_read_b32 v159, v21 offset:21824                         // 00000000E084: D86C5540 9F000015
	ds_read_b32 v162, v21 offset:23936                         // 00000000E08C: D86C5D80 A2000015
	ds_read_b32 v163, v21 offset:24000                         // 00000000E094: D86C5DC0 A3000015
	s_waitcnt lgkmcnt(0)                                       // 00000000E09C: BF8CC07F
	v_mov_b32_e32 v7, 0                                        // 00000000E0A0: 7E0E0280
	s_mov_b64 exec, s[36:37]                                   // 00000000E0A4: BEFE0124
	v_mov_b32_e32 v6, v54                                      // 00000000E0A8: 7E0C0336
	s_mov_b64 s[60:61], 0                                      // 00000000E0AC: BEBC0180
	v_readlane_b32 s82, v3, 0                                  // 00000000E0B0: D2890052 00010103
	s_and_b32 s82, s82, 0xffffff                               // 00000000E0B8: 8652FF52 00FFFFFF
	s_cmp_lt_u32 s82, s66                                      // 00000000E0C0: BF0A4252
	s_cselect_b32 s20, s36, s60                                // 00000000E0C4: 85143C24
	v_readlane_b32 s82, v3, 1                                  // 00000000E0C8: D2890052 00010303
	s_and_b32 s82, s82, 0xffffff                               // 00000000E0D0: 8652FF52 00FFFFFF
	s_cmp_lt_u32 s82, s66                                      // 00000000E0D8: BF0A4252
	s_cselect_b32 s21, s36, s60                                // 00000000E0DC: 85153C24
	s_mov_b64 exec, s[20:21]                                   // 00000000E0E0: BEFE0114
	global_atomic_add_f32 v6, v118, s[8:9] offset:8            // 00000000E0E4: DD348008 00087606
	global_atomic_add_f32 v6, v122, s[8:9] offset:264          // 00000000E0EC: DD348108 00087A06
	s_mov_b64 exec, s[36:37]                                   // 00000000E0F4: BEFE0124
	v_mov_b32_e32 v6, v55                                      // 00000000E0F8: 7E0C0337
	s_mov_b64 s[60:61], 0                                      // 00000000E0FC: BEBC0180
	v_readlane_b32 s82, v3, 2                                  // 00000000E100: D2890052 00010503
	s_and_b32 s82, s82, 0xffffff                               // 00000000E108: 8652FF52 00FFFFFF
	s_cmp_lt_u32 s82, s66                                      // 00000000E110: BF0A4252
	s_cselect_b32 s20, s36, s60                                // 00000000E114: 85143C24
	v_readlane_b32 s82, v3, 3                                  // 00000000E118: D2890052 00010703
	s_and_b32 s82, s82, 0xffffff                               // 00000000E120: 8652FF52 00FFFFFF
	s_cmp_lt_u32 s82, s66                                      // 00000000E128: BF0A4252
	s_cselect_b32 s21, s36, s60                                // 00000000E12C: 85153C24
	s_mov_b64 exec, s[20:21]                                   // 00000000E130: BEFE0114
	global_atomic_add_f32 v6, v119, s[8:9] offset:8            // 00000000E134: DD348008 00087706
	global_atomic_add_f32 v6, v123, s[8:9] offset:264          // 00000000E13C: DD348108 00087B06
	s_mov_b64 exec, s[36:37]                                   // 00000000E144: BEFE0124
	v_mov_b32_e32 v6, v56                                      // 00000000E148: 7E0C0338
	s_mov_b64 s[60:61], 0                                      // 00000000E14C: BEBC0180
	v_readlane_b32 s82, v3, 4                                  // 00000000E150: D2890052 00010903
	s_and_b32 s82, s82, 0xffffff                               // 00000000E158: 8652FF52 00FFFFFF
	s_cmp_lt_u32 s82, s66                                      // 00000000E160: BF0A4252
	s_cselect_b32 s20, s36, s60                                // 00000000E164: 85143C24
	v_readlane_b32 s82, v3, 5                                  // 00000000E168: D2890052 00010B03
	s_and_b32 s82, s82, 0xffffff                               // 00000000E170: 8652FF52 00FFFFFF
	s_cmp_lt_u32 s82, s66                                      // 00000000E178: BF0A4252
	s_cselect_b32 s21, s36, s60                                // 00000000E17C: 85153C24
	s_mov_b64 exec, s[20:21]                                   // 00000000E180: BEFE0114
	global_atomic_add_f32 v6, v126, s[8:9] offset:8            // 00000000E184: DD348008 00087E06
	global_atomic_add_f32 v6, v130, s[8:9] offset:264          // 00000000E18C: DD348108 00088206
	s_mov_b64 exec, s[36:37]                                   // 00000000E194: BEFE0124
	v_mov_b32_e32 v6, v57                                      // 00000000E198: 7E0C0339
	s_mov_b64 s[60:61], 0                                      // 00000000E19C: BEBC0180
	v_readlane_b32 s82, v3, 6                                  // 00000000E1A0: D2890052 00010D03
	s_and_b32 s82, s82, 0xffffff                               // 00000000E1A8: 8652FF52 00FFFFFF
	s_cmp_lt_u32 s82, s66                                      // 00000000E1B0: BF0A4252
	s_cselect_b32 s20, s36, s60                                // 00000000E1B4: 85143C24
	v_readlane_b32 s82, v3, 7                                  // 00000000E1B8: D2890052 00010F03
	s_and_b32 s82, s82, 0xffffff                               // 00000000E1C0: 8652FF52 00FFFFFF
	s_cmp_lt_u32 s82, s66                                      // 00000000E1C8: BF0A4252
	s_cselect_b32 s21, s36, s60                                // 00000000E1CC: 85153C24
	s_mov_b64 exec, s[20:21]                                   // 00000000E1D0: BEFE0114
	global_atomic_add_f32 v6, v127, s[8:9] offset:8            // 00000000E1D4: DD348008 00087F06
	global_atomic_add_f32 v6, v131, s[8:9] offset:264          // 00000000E1DC: DD348108 00088306
	s_mov_b64 exec, s[36:37]                                   // 00000000E1E4: BEFE0124
	v_mov_b32_e32 v6, v58                                      // 00000000E1E8: 7E0C033A
	s_mov_b64 s[60:61], 0                                      // 00000000E1EC: BEBC0180
	v_readlane_b32 s82, v3, 8                                  // 00000000E1F0: D2890052 00011103
	s_and_b32 s82, s82, 0xffffff                               // 00000000E1F8: 8652FF52 00FFFFFF
	s_cmp_lt_u32 s82, s66                                      // 00000000E200: BF0A4252
	s_cselect_b32 s20, s36, s60                                // 00000000E204: 85143C24
	v_readlane_b32 s82, v3, 9                                  // 00000000E208: D2890052 00011303
	s_and_b32 s82, s82, 0xffffff                               // 00000000E210: 8652FF52 00FFFFFF
	s_cmp_lt_u32 s82, s66                                      // 00000000E218: BF0A4252
	s_cselect_b32 s21, s36, s60                                // 00000000E21C: 85153C24
	s_mov_b64 exec, s[20:21]                                   // 00000000E220: BEFE0114
	global_atomic_add_f32 v6, v134, s[8:9] offset:8            // 00000000E224: DD348008 00088606
	global_atomic_add_f32 v6, v138, s[8:9] offset:264          // 00000000E22C: DD348108 00088A06
	s_mov_b64 exec, s[36:37]                                   // 00000000E234: BEFE0124
	v_mov_b32_e32 v6, v59                                      // 00000000E238: 7E0C033B
	s_mov_b64 s[60:61], 0                                      // 00000000E23C: BEBC0180
	v_readlane_b32 s82, v3, 10                                 // 00000000E240: D2890052 00011503
	s_and_b32 s82, s82, 0xffffff                               // 00000000E248: 8652FF52 00FFFFFF
	s_cmp_lt_u32 s82, s66                                      // 00000000E250: BF0A4252
	s_cselect_b32 s20, s36, s60                                // 00000000E254: 85143C24
	v_readlane_b32 s82, v3, 11                                 // 00000000E258: D2890052 00011703
	s_and_b32 s82, s82, 0xffffff                               // 00000000E260: 8652FF52 00FFFFFF
	s_cmp_lt_u32 s82, s66                                      // 00000000E268: BF0A4252
	s_cselect_b32 s21, s36, s60                                // 00000000E26C: 85153C24
	s_mov_b64 exec, s[20:21]                                   // 00000000E270: BEFE0114
	global_atomic_add_f32 v6, v135, s[8:9] offset:8            // 00000000E274: DD348008 00088706
	global_atomic_add_f32 v6, v139, s[8:9] offset:264          // 00000000E27C: DD348108 00088B06
	s_mov_b64 exec, s[36:37]                                   // 00000000E284: BEFE0124
	v_mov_b32_e32 v6, v60                                      // 00000000E288: 7E0C033C
	s_mov_b64 s[60:61], 0                                      // 00000000E28C: BEBC0180
	v_readlane_b32 s82, v3, 12                                 // 00000000E290: D2890052 00011903
	s_and_b32 s82, s82, 0xffffff                               // 00000000E298: 8652FF52 00FFFFFF
	s_cmp_lt_u32 s82, s66                                      // 00000000E2A0: BF0A4252
	s_cselect_b32 s20, s36, s60                                // 00000000E2A4: 85143C24
	v_readlane_b32 s82, v3, 13                                 // 00000000E2A8: D2890052 00011B03
	s_and_b32 s82, s82, 0xffffff                               // 00000000E2B0: 8652FF52 00FFFFFF
	s_cmp_lt_u32 s82, s66                                      // 00000000E2B8: BF0A4252
	s_cselect_b32 s21, s36, s60                                // 00000000E2BC: 85153C24
	s_mov_b64 exec, s[20:21]                                   // 00000000E2C0: BEFE0114
	global_atomic_add_f32 v6, v142, s[8:9] offset:8            // 00000000E2C4: DD348008 00088E06
	global_atomic_add_f32 v6, v146, s[8:9] offset:264          // 00000000E2CC: DD348108 00089206
	s_mov_b64 exec, s[36:37]                                   // 00000000E2D4: BEFE0124
	v_mov_b32_e32 v6, v61                                      // 00000000E2D8: 7E0C033D
	s_mov_b64 s[60:61], 0                                      // 00000000E2DC: BEBC0180
	v_readlane_b32 s82, v3, 14                                 // 00000000E2E0: D2890052 00011D03
	s_and_b32 s82, s82, 0xffffff                               // 00000000E2E8: 8652FF52 00FFFFFF
	s_cmp_lt_u32 s82, s66                                      // 00000000E2F0: BF0A4252
	s_cselect_b32 s20, s36, s60                                // 00000000E2F4: 85143C24
	v_readlane_b32 s82, v3, 15                                 // 00000000E2F8: D2890052 00011F03
	s_and_b32 s82, s82, 0xffffff                               // 00000000E300: 8652FF52 00FFFFFF
	s_cmp_lt_u32 s82, s66                                      // 00000000E308: BF0A4252
	s_cselect_b32 s21, s36, s60                                // 00000000E30C: 85153C24
	s_mov_b64 exec, s[20:21]                                   // 00000000E310: BEFE0114
	global_atomic_add_f32 v6, v143, s[8:9] offset:8            // 00000000E314: DD348008 00088F06
	global_atomic_add_f32 v6, v147, s[8:9] offset:264          // 00000000E31C: DD348108 00089306
	s_mov_b64 exec, s[36:37]                                   // 00000000E324: BEFE0124
	v_mov_b32_e32 v6, v62                                      // 00000000E328: 7E0C033E
	s_mov_b64 s[60:61], 0                                      // 00000000E32C: BEBC0180
	v_readlane_b32 s82, v3, 16                                 // 00000000E330: D2890052 00012103
	s_and_b32 s82, s82, 0xffffff                               // 00000000E338: 8652FF52 00FFFFFF
	s_cmp_lt_u32 s82, s66                                      // 00000000E340: BF0A4252
	s_cselect_b32 s20, s36, s60                                // 00000000E344: 85143C24
	v_readlane_b32 s82, v3, 17                                 // 00000000E348: D2890052 00012303
	s_and_b32 s82, s82, 0xffffff                               // 00000000E350: 8652FF52 00FFFFFF
	s_cmp_lt_u32 s82, s66                                      // 00000000E358: BF0A4252
	s_cselect_b32 s21, s36, s60                                // 00000000E35C: 85153C24
	s_mov_b64 exec, s[20:21]                                   // 00000000E360: BEFE0114
	global_atomic_add_f32 v6, v150, s[8:9] offset:8            // 00000000E364: DD348008 00089606
	global_atomic_add_f32 v6, v154, s[8:9] offset:264          // 00000000E36C: DD348108 00089A06
	s_mov_b64 exec, s[36:37]                                   // 00000000E374: BEFE0124
	v_mov_b32_e32 v6, v63                                      // 00000000E378: 7E0C033F
	s_mov_b64 s[60:61], 0                                      // 00000000E37C: BEBC0180
	v_readlane_b32 s82, v3, 18                                 // 00000000E380: D2890052 00012503
	s_and_b32 s82, s82, 0xffffff                               // 00000000E388: 8652FF52 00FFFFFF
	s_cmp_lt_u32 s82, s66                                      // 00000000E390: BF0A4252
	s_cselect_b32 s20, s36, s60                                // 00000000E394: 85143C24
	v_readlane_b32 s82, v3, 19                                 // 00000000E398: D2890052 00012703
	s_and_b32 s82, s82, 0xffffff                               // 00000000E3A0: 8652FF52 00FFFFFF
	s_cmp_lt_u32 s82, s66                                      // 00000000E3A8: BF0A4252
	s_cselect_b32 s21, s36, s60                                // 00000000E3AC: 85153C24
	s_mov_b64 exec, s[20:21]                                   // 00000000E3B0: BEFE0114
	global_atomic_add_f32 v6, v151, s[8:9] offset:8            // 00000000E3B4: DD348008 00089706
	global_atomic_add_f32 v6, v155, s[8:9] offset:264          // 00000000E3BC: DD348108 00089B06
	s_mov_b64 exec, s[36:37]                                   // 00000000E3C4: BEFE0124
	v_mov_b32_e32 v6, v64                                      // 00000000E3C8: 7E0C0340
	s_mov_b64 s[60:61], 0                                      // 00000000E3CC: BEBC0180
	v_readlane_b32 s82, v3, 20                                 // 00000000E3D0: D2890052 00012903
	s_and_b32 s82, s82, 0xffffff                               // 00000000E3D8: 8652FF52 00FFFFFF
	s_cmp_lt_u32 s82, s66                                      // 00000000E3E0: BF0A4252
	s_cselect_b32 s20, s36, s60                                // 00000000E3E4: 85143C24
	v_readlane_b32 s82, v3, 21                                 // 00000000E3E8: D2890052 00012B03
	s_and_b32 s82, s82, 0xffffff                               // 00000000E3F0: 8652FF52 00FFFFFF
	s_cmp_lt_u32 s82, s66                                      // 00000000E3F8: BF0A4252
	s_cselect_b32 s21, s36, s60                                // 00000000E3FC: 85153C24
	s_mov_b64 exec, s[20:21]                                   // 00000000E400: BEFE0114
	global_atomic_add_f32 v6, v158, s[8:9] offset:8            // 00000000E404: DD348008 00089E06
	global_atomic_add_f32 v6, v162, s[8:9] offset:264          // 00000000E40C: DD348108 0008A206
	s_mov_b64 exec, s[36:37]                                   // 00000000E414: BEFE0124
	v_mov_b32_e32 v6, v65                                      // 00000000E418: 7E0C0341
	s_mov_b64 s[60:61], 0                                      // 00000000E41C: BEBC0180
	v_readlane_b32 s82, v3, 22                                 // 00000000E420: D2890052 00012D03
	s_and_b32 s82, s82, 0xffffff                               // 00000000E428: 8652FF52 00FFFFFF
	s_cmp_lt_u32 s82, s66                                      // 00000000E430: BF0A4252
	s_cselect_b32 s20, s36, s60                                // 00000000E434: 85143C24
	v_readlane_b32 s82, v3, 23                                 // 00000000E438: D2890052 00012F03
	s_and_b32 s82, s82, 0xffffff                               // 00000000E440: 8652FF52 00FFFFFF
	s_cmp_lt_u32 s82, s66                                      // 00000000E448: BF0A4252
	s_cselect_b32 s21, s36, s60                                // 00000000E44C: 85153C24
	s_mov_b64 exec, s[20:21]                                   // 00000000E450: BEFE0114
	global_atomic_add_f32 v6, v159, s[8:9] offset:8            // 00000000E454: DD348008 00089F06
	global_atomic_add_f32 v6, v163, s[8:9] offset:264          // 00000000E45C: DD348108 0008A306
	s_mov_b64 exec, s[36:37]                                   // 00000000E464: BEFE0124
	s_branch label_2E9E                                        // 00000000E468: BF820000

000000000000e46c <label_2E9E>:
	s_waitcnt vmcnt(0) expcnt(0) lgkmcnt(0)                    // 00000000E46C: BF8C0000
	s_endpgm                                                   // 00000000E470: BF810000
